;; amdgpu-corpus repo=ROCm/rocFFT kind=compiled arch=gfx1030 opt=O3
	.text
	.amdgcn_target "amdgcn-amd-amdhsa--gfx1030"
	.amdhsa_code_object_version 6
	.protected	bluestein_single_fwd_len572_dim1_dp_op_CI_CI ; -- Begin function bluestein_single_fwd_len572_dim1_dp_op_CI_CI
	.globl	bluestein_single_fwd_len572_dim1_dp_op_CI_CI
	.p2align	8
	.type	bluestein_single_fwd_len572_dim1_dp_op_CI_CI,@function
bluestein_single_fwd_len572_dim1_dp_op_CI_CI: ; @bluestein_single_fwd_len572_dim1_dp_op_CI_CI
; %bb.0:
	s_load_dwordx4 s[0:3], s[4:5], 0x28
	v_mul_u32_u24_e32 v1, 0x4ed, v0
	v_mov_b32_e32 v133, 0
	v_lshrrev_b32_e32 v1, 16, v1
	v_add_nc_u32_e32 v132, s6, v1
	s_waitcnt lgkmcnt(0)
	v_cmp_gt_u64_e32 vcc_lo, s[0:1], v[132:133]
	s_and_saveexec_b32 s0, vcc_lo
	s_cbranch_execz .LBB0_23
; %bb.1:
	s_clause 0x1
	s_load_dwordx2 s[14:15], s[4:5], 0x0
	s_load_dwordx2 s[12:13], s[4:5], 0x38
	v_mul_lo_u16 v1, v1, 52
	v_sub_nc_u16 v0, v0, v1
	v_and_b32_e32 v206, 0xffff, v0
	v_cmp_gt_u16_e32 vcc_lo, 44, v0
	v_lshlrev_b32_e32 v205, 4, v206
	s_and_saveexec_b32 s1, vcc_lo
	s_cbranch_execz .LBB0_3
; %bb.2:
	s_load_dwordx2 s[6:7], s[4:5], 0x18
	s_waitcnt lgkmcnt(0)
	v_add_co_u32 v14, s0, s14, v205
	v_add_co_ci_u32_e64 v15, null, s15, 0, s0
	global_load_dwordx4 v[0:3], v205, s[14:15]
	v_add_co_u32 v22, s0, 0x800, v14
	v_add_co_ci_u32_e64 v23, s0, 0, v15, s0
	v_add_co_u32 v32, s0, 0x1000, v14
	v_add_co_ci_u32_e64 v33, s0, 0, v15, s0
	;; [unrolled: 2-line block ×3, first 2 shown]
	v_add_co_u32 v96, s0, 0x2000, v14
	s_load_dwordx4 s[8:11], s[6:7], 0x0
	v_add_co_ci_u32_e64 v97, s0, 0, v15, s0
	s_clause 0x1
	global_load_dwordx4 v[4:7], v205, s[14:15] offset:704
	global_load_dwordx4 v[8:11], v205, s[14:15] offset:1408
	s_waitcnt lgkmcnt(0)
	v_mad_u64_u32 v[20:21], null, s10, v132, 0
	v_mad_u64_u32 v[24:25], null, s8, v206, 0
	s_mul_i32 s6, s9, 0x2c0
	s_mul_hi_u32 s7, s8, 0x2c0
	s_add_i32 s7, s7, s6
	v_mov_b32_e32 v12, v21
	v_mad_u64_u32 v[12:13], null, s11, v132, v[12:13]
	v_mov_b32_e32 v13, v25
	v_mad_u64_u32 v[25:26], null, s9, v206, v[13:14]
	v_mov_b32_e32 v21, v12
	s_clause 0x1
	global_load_dwordx4 v[12:15], v[22:23], off offset:64
	global_load_dwordx4 v[16:19], v[22:23], off offset:768
	v_lshlrev_b64 v[26:27], 4, v[20:21]
	v_lshlrev_b64 v[24:25], 4, v[24:25]
	global_load_dwordx4 v[20:23], v[22:23], off offset:1472
	v_add_co_u32 v26, s0, s2, v26
	v_add_co_ci_u32_e64 v27, s0, s3, v27, s0
	s_mul_i32 s2, s8, 0x2c0
	v_add_co_u32 v44, s0, v26, v24
	v_add_co_ci_u32_e64 v45, s0, v27, v25, s0
	s_clause 0x1
	global_load_dwordx4 v[24:27], v[32:33], off offset:128
	global_load_dwordx4 v[28:31], v[32:33], off offset:832
	v_add_co_u32 v48, s0, v44, s2
	v_add_co_ci_u32_e64 v49, s0, s7, v45, s0
	global_load_dwordx4 v[32:35], v[32:33], off offset:1536
	v_add_co_u32 v52, s0, v48, s2
	v_add_co_ci_u32_e64 v53, s0, s7, v49, s0
	s_clause 0x1
	global_load_dwordx4 v[36:39], v[88:89], off offset:192
	global_load_dwordx4 v[40:43], v[88:89], off offset:896
	v_add_co_u32 v56, s0, v52, s2
	v_add_co_ci_u32_e64 v57, s0, s7, v53, s0
	s_clause 0x1
	global_load_dwordx4 v[44:47], v[44:45], off
	global_load_dwordx4 v[48:51], v[48:49], off
	v_add_co_u32 v60, s0, v56, s2
	v_add_co_ci_u32_e64 v61, s0, s7, v57, s0
	s_clause 0x1
	global_load_dwordx4 v[52:55], v[52:53], off
	global_load_dwordx4 v[56:59], v[56:57], off
	v_add_co_u32 v64, s0, v60, s2
	v_add_co_ci_u32_e64 v65, s0, s7, v61, s0
	global_load_dwordx4 v[60:63], v[60:61], off
	v_add_co_u32 v68, s0, v64, s2
	v_add_co_ci_u32_e64 v69, s0, s7, v65, s0
	;; [unrolled: 3-line block ×7, first 2 shown]
	v_add_co_u32 v100, s0, v92, s2
	v_add_co_ci_u32_e64 v101, s0, s7, v93, s0
	global_load_dwordx4 v[84:87], v[84:85], off
	global_load_dwordx4 v[88:91], v[88:89], off offset:1600
	global_load_dwordx4 v[92:95], v[92:93], off
	global_load_dwordx4 v[96:99], v[96:97], off offset:256
	global_load_dwordx4 v[100:103], v[100:101], off
	s_waitcnt vmcnt(14)
	v_mul_f64 v[104:105], v[46:47], v[2:3]
	v_mul_f64 v[2:3], v[44:45], v[2:3]
	s_waitcnt vmcnt(13)
	v_mul_f64 v[106:107], v[50:51], v[6:7]
	v_mul_f64 v[6:7], v[48:49], v[6:7]
	s_waitcnt vmcnt(12)
	v_mul_f64 v[108:109], v[54:55], v[10:11]
	v_mul_f64 v[10:11], v[52:53], v[10:11]
	s_waitcnt vmcnt(11)
	v_mul_f64 v[110:111], v[58:59], v[14:15]
	v_mul_f64 v[14:15], v[56:57], v[14:15]
	s_waitcnt vmcnt(10)
	v_mul_f64 v[112:113], v[62:63], v[18:19]
	v_mul_f64 v[18:19], v[60:61], v[18:19]
	v_fma_f64 v[44:45], v[44:45], v[0:1], v[104:105]
	s_waitcnt vmcnt(9)
	v_mul_f64 v[104:105], v[66:67], v[22:23]
	v_mul_f64 v[22:23], v[64:65], v[22:23]
	v_fma_f64 v[46:47], v[46:47], v[0:1], -v[2:3]
	v_fma_f64 v[0:1], v[48:49], v[4:5], v[106:107]
	s_waitcnt vmcnt(8)
	v_mul_f64 v[48:49], v[70:71], v[26:27]
	v_mul_f64 v[26:27], v[68:69], v[26:27]
	v_fma_f64 v[2:3], v[50:51], v[4:5], -v[6:7]
	s_waitcnt vmcnt(7)
	v_mul_f64 v[50:51], v[74:75], v[30:31]
	v_mul_f64 v[30:31], v[72:73], v[30:31]
	s_waitcnt vmcnt(6)
	v_mul_f64 v[106:107], v[78:79], v[34:35]
	v_mul_f64 v[34:35], v[76:77], v[34:35]
	v_fma_f64 v[4:5], v[52:53], v[8:9], v[108:109]
	v_fma_f64 v[6:7], v[54:55], v[8:9], -v[10:11]
	s_waitcnt vmcnt(5)
	v_mul_f64 v[114:115], v[82:83], v[38:39]
	v_mul_f64 v[38:39], v[80:81], v[38:39]
	v_fma_f64 v[8:9], v[56:57], v[12:13], v[110:111]
	v_fma_f64 v[10:11], v[58:59], v[12:13], -v[14:15]
	v_fma_f64 v[12:13], v[60:61], v[16:17], v[112:113]
	v_fma_f64 v[14:15], v[62:63], v[16:17], -v[18:19]
	s_waitcnt vmcnt(4)
	v_mul_f64 v[116:117], v[86:87], v[42:43]
	v_mul_f64 v[42:43], v[84:85], v[42:43]
	s_waitcnt vmcnt(2)
	v_mul_f64 v[118:119], v[94:95], v[90:91]
	v_mul_f64 v[90:91], v[92:93], v[90:91]
	s_waitcnt vmcnt(0)
	v_mul_f64 v[120:121], v[102:103], v[98:99]
	v_mul_f64 v[98:99], v[100:101], v[98:99]
	v_fma_f64 v[16:17], v[64:65], v[20:21], v[104:105]
	v_fma_f64 v[18:19], v[66:67], v[20:21], -v[22:23]
	v_fma_f64 v[20:21], v[68:69], v[24:25], v[48:49]
	v_fma_f64 v[22:23], v[70:71], v[24:25], -v[26:27]
	;; [unrolled: 2-line block ×8, first 2 shown]
	ds_write_b128 v205, v[44:47]
	ds_write_b128 v205, v[0:3] offset:704
	ds_write_b128 v205, v[4:7] offset:1408
	;; [unrolled: 1-line block ×12, first 2 shown]
.LBB0_3:
	s_or_b32 exec_lo, exec_lo, s1
	s_clause 0x1
	s_load_dwordx2 s[0:1], s[4:5], 0x20
	s_load_dwordx2 s[2:3], s[4:5], 0x8
	s_waitcnt lgkmcnt(0)
	s_barrier
	buffer_gl0_inv
                                        ; implicit-def: $vgpr20_vgpr21
                                        ; implicit-def: $vgpr44_vgpr45
                                        ; implicit-def: $vgpr36_vgpr37
                                        ; implicit-def: $vgpr28_vgpr29
                                        ; implicit-def: $vgpr24_vgpr25
                                        ; implicit-def: $vgpr8_vgpr9
                                        ; implicit-def: $vgpr4_vgpr5
                                        ; implicit-def: $vgpr12_vgpr13
                                        ; implicit-def: $vgpr16_vgpr17
                                        ; implicit-def: $vgpr32_vgpr33
                                        ; implicit-def: $vgpr40_vgpr41
                                        ; implicit-def: $vgpr48_vgpr49
                                        ; implicit-def: $vgpr52_vgpr53
	s_and_saveexec_b32 s4, vcc_lo
	s_cbranch_execz .LBB0_5
; %bb.4:
	ds_read_b128 v[20:23], v205
	ds_read_b128 v[52:55], v205 offset:704
	ds_read_b128 v[48:51], v205 offset:1408
	;; [unrolled: 1-line block ×12, first 2 shown]
.LBB0_5:
	s_or_b32 exec_lo, exec_lo, s4
	s_waitcnt lgkmcnt(0)
	v_add_f64 v[149:150], v[54:55], -v[6:7]
	v_add_f64 v[62:63], v[52:53], -v[4:5]
	s_mov_b32 s4, 0x4267c47c
	s_mov_b32 s6, 0x42a4c3d2
	;; [unrolled: 1-line block ×4, first 2 shown]
	v_add_f64 v[60:61], v[4:5], v[52:53]
	v_add_f64 v[151:152], v[6:7], v[54:55]
	v_add_f64 v[56:57], v[50:51], -v[10:11]
	v_add_f64 v[58:59], v[48:49], -v[8:9]
	s_mov_b32 s10, 0xe00740e9
	s_mov_b32 s8, 0x1ea71119
	s_mov_b32 s20, 0x2ef20147
	s_mov_b32 s11, 0x3fec55a7
	s_mov_b32 s9, 0x3fe22d96
	s_mov_b32 s21, 0xbfedeba7
	v_add_f64 v[84:85], v[8:9], v[48:49]
	v_add_f64 v[147:148], v[10:11], v[50:51]
	v_add_f64 v[133:134], v[46:47], -v[14:15]
	v_add_f64 v[108:109], v[44:45], -v[12:13]
	s_mov_b32 s28, 0x66966769
	s_mov_b32 s26, 0xb2365da1
	v_mul_f64 v[64:65], v[149:150], s[4:5]
	v_mul_f64 v[66:67], v[62:63], s[4:5]
	;; [unrolled: 1-line block ×4, first 2 shown]
	s_mov_b32 s34, 0x4bc48dbf
	s_mov_b32 s29, 0xbfefc445
	;; [unrolled: 1-line block ×4, first 2 shown]
	v_mul_f64 v[92:93], v[56:57], s[6:7]
	v_mul_f64 v[116:117], v[58:59], s[6:7]
	;; [unrolled: 1-line block ×4, first 2 shown]
	v_add_f64 v[120:121], v[44:45], v[12:13]
	v_add_f64 v[145:146], v[46:47], v[14:15]
	v_add_f64 v[68:69], v[36:37], -v[16:17]
	v_add_f64 v[88:89], v[38:39], -v[18:19]
	s_mov_b32 s30, 0xebaa3ed8
	s_mov_b32 s16, 0x24c2f84
	v_mul_f64 v[86:87], v[133:134], s[28:29]
	v_mul_f64 v[112:113], v[108:109], s[28:29]
	;; [unrolled: 1-line block ×4, first 2 shown]
	v_fma_f64 v[0:1], v[60:61], s[10:11], v[64:65]
	v_fma_f64 v[2:3], v[151:152], s[10:11], -v[66:67]
	v_fma_f64 v[70:71], v[60:61], s[8:9], v[153:154]
	v_fma_f64 v[72:73], v[151:152], s[8:9], -v[155:156]
	s_mov_b32 s24, 0x93053d00
	s_mov_b32 s31, 0x3fbedb7d
	;; [unrolled: 1-line block ×4, first 2 shown]
	v_fma_f64 v[76:77], v[84:85], s[8:9], v[92:93]
	v_fma_f64 v[78:79], v[147:148], s[8:9], -v[116:117]
	v_fma_f64 v[80:81], v[84:85], s[26:27], v[130:131]
	v_fma_f64 v[82:83], v[147:148], s[26:27], -v[139:140]
	v_add_f64 v[74:75], v[36:37], v[16:17]
	v_add_f64 v[137:138], v[38:39], v[18:19]
	v_add_f64 v[96:97], v[42:43], -v[26:27]
	v_mul_f64 v[90:91], v[88:89], s[20:21]
	v_mul_f64 v[94:95], v[68:69], s[20:21]
	;; [unrolled: 1-line block ×4, first 2 shown]
	v_fma_f64 v[102:103], v[120:121], s[30:31], v[86:87]
	v_fma_f64 v[114:115], v[145:146], s[30:31], -v[112:113]
	v_fma_f64 v[126:127], v[120:121], s[24:25], v[128:129]
	v_add_f64 v[0:1], v[20:21], v[0:1]
	v_add_f64 v[2:3], v[22:23], v[2:3]
	;; [unrolled: 1-line block ×4, first 2 shown]
	v_add_f64 v[70:71], v[40:41], -v[24:25]
	v_fma_f64 v[143:144], v[145:146], s[24:25], -v[135:136]
	s_mov_b32 s18, 0xd0032e0c
	s_mov_b32 s23, 0xbfe5384d
	;; [unrolled: 1-line block ×6, first 2 shown]
	v_add_f64 v[141:142], v[26:27], v[42:43]
	v_add_f64 v[106:107], v[34:35], -v[30:31]
	v_mul_f64 v[100:101], v[96:97], s[22:23]
	v_mul_f64 v[118:119], v[96:97], s[36:37]
	v_fma_f64 v[157:158], v[137:138], s[26:27], -v[94:95]
	v_fma_f64 v[159:160], v[74:75], s[18:19], v[104:105]
	v_fma_f64 v[161:162], v[137:138], s[18:19], -v[122:123]
	s_mov_b32 s39, 0x3fddbe06
	s_mov_b32 s38, s4
	v_mul_lo_u16 v207, v206, 13
	v_add_f64 v[0:1], v[76:77], v[0:1]
	v_add_f64 v[2:3], v[78:79], v[2:3]
	;; [unrolled: 1-line block ×5, first 2 shown]
	v_add_f64 v[72:73], v[32:33], -v[28:29]
	v_mul_f64 v[110:111], v[70:71], s[22:23]
	v_mul_f64 v[124:125], v[70:71], s[36:37]
	v_fma_f64 v[82:83], v[74:75], s[26:27], v[90:91]
	s_barrier
	buffer_gl0_inv
	v_mul_f64 v[98:99], v[106:107], s[34:35]
	v_add_f64 v[0:1], v[102:103], v[0:1]
	v_add_f64 v[2:3], v[114:115], v[2:3]
	;; [unrolled: 1-line block ×6, first 2 shown]
	v_mul_f64 v[102:103], v[72:73], s[34:35]
	v_mul_f64 v[114:115], v[106:107], s[38:39]
	;; [unrolled: 1-line block ×3, first 2 shown]
	v_fma_f64 v[165:166], v[76:77], s[18:19], v[100:101]
	v_fma_f64 v[167:168], v[141:142], s[18:19], -v[110:111]
	v_fma_f64 v[169:170], v[76:77], s[30:31], v[118:119]
	v_fma_f64 v[171:172], v[141:142], s[30:31], -v[124:125]
	v_add_f64 v[0:1], v[82:83], v[0:1]
	v_add_f64 v[2:3], v[157:158], v[2:3]
	;; [unrolled: 1-line block ×4, first 2 shown]
	v_fma_f64 v[157:158], v[78:79], s[24:25], v[98:99]
	v_fma_f64 v[159:160], v[143:144], s[24:25], -v[102:103]
	v_fma_f64 v[161:162], v[78:79], s[10:11], v[114:115]
	v_fma_f64 v[163:164], v[143:144], s[10:11], -v[126:127]
	v_add_f64 v[0:1], v[165:166], v[0:1]
	v_add_f64 v[2:3], v[167:168], v[2:3]
	;; [unrolled: 1-line block ×8, first 2 shown]
	s_and_saveexec_b32 s33, vcc_lo
	s_cbranch_execz .LBB0_7
; %bb.6:
	v_add_f64 v[54:55], v[22:23], v[54:55]
	v_add_f64 v[52:53], v[20:21], v[52:53]
	v_mul_f64 v[157:158], v[151:152], s[24:25]
	s_mov_b32 s41, 0x3fcea1e5
	s_mov_b32 s40, s34
	v_mul_f64 v[169:170], v[147:148], s[10:11]
	v_mul_f64 v[167:168], v[149:150], s[34:35]
	;; [unrolled: 1-line block ×13, first 2 shown]
	s_mov_b32 s43, 0x3fedeba7
	s_mov_b32 s42, s20
	v_mul_f64 v[183:184], v[133:134], s[22:23]
	v_mul_f64 v[159:160], v[60:61], s[10:11]
	v_add_f64 v[50:51], v[50:51], v[54:55]
	v_add_f64 v[48:49], v[48:49], v[52:53]
	v_fma_f64 v[52:53], v[62:63], s[40:41], v[157:158]
	v_fma_f64 v[157:158], v[62:63], s[34:35], v[157:158]
	v_mul_f64 v[54:55], v[151:152], s[30:31]
	v_fma_f64 v[203:204], v[58:59], s[4:5], v[169:170]
	v_mul_f64 v[151:152], v[56:57], s[38:39]
	v_fma_f64 v[201:202], v[60:61], s[24:25], v[167:168]
	v_fma_f64 v[167:168], v[60:61], s[24:25], -v[167:168]
	v_fma_f64 v[208:209], v[62:63], s[16:17], v[173:174]
	v_fma_f64 v[210:211], v[60:61], s[18:19], v[175:176]
	;; [unrolled: 1-line block ×5, first 2 shown]
	v_mul_f64 v[163:164], v[60:61], s[8:9]
	v_mul_f64 v[189:190], v[133:134], s[6:7]
	v_fma_f64 v[177:178], v[108:109], s[22:23], v[177:178]
	v_fma_f64 v[226:227], v[84:85], s[30:31], v[191:192]
	;; [unrolled: 1-line block ×3, first 2 shown]
	s_mov_b32 s45, 0x3fea55e2
	s_mov_b32 s44, s6
	v_mul_f64 v[193:194], v[147:148], s[18:19]
	v_add_f64 v[46:47], v[46:47], v[50:51]
	v_add_f64 v[44:45], v[44:45], v[48:49]
	;; [unrolled: 1-line block ×4, first 2 shown]
	v_mul_f64 v[218:219], v[88:89], s[44:45]
	v_fma_f64 v[224:225], v[58:59], s[28:29], v[187:188]
	v_fma_f64 v[222:223], v[84:85], s[10:11], v[151:152]
	v_fma_f64 v[151:152], v[84:85], s[10:11], -v[151:152]
	v_add_f64 v[167:168], v[20:21], v[167:168]
	v_add_f64 v[201:202], v[20:21], v[201:202]
	;; [unrolled: 1-line block ×4, first 2 shown]
	v_fma_f64 v[230:231], v[120:121], s[18:19], v[183:184]
	v_fma_f64 v[183:184], v[120:121], s[18:19], -v[183:184]
	v_mul_f64 v[185:186], v[145:146], s[8:9]
	v_mul_f64 v[195:196], v[141:142], s[26:27]
	;; [unrolled: 1-line block ×4, first 2 shown]
	v_fma_f64 v[234:235], v[120:121], s[8:9], v[189:190]
	v_fma_f64 v[171:172], v[68:69], s[44:45], v[171:172]
	v_mul_f64 v[199:200], v[96:97], s[20:21]
	v_mul_f64 v[197:198], v[137:138], s[24:25]
	v_add_f64 v[38:39], v[38:39], v[46:47]
	v_add_f64 v[36:37], v[36:37], v[44:45]
	;; [unrolled: 1-line block ×3, first 2 shown]
	v_fma_f64 v[46:47], v[60:61], s[18:19], -v[175:176]
	v_fma_f64 v[48:49], v[62:63], s[42:43], v[179:180]
	v_fma_f64 v[175:176], v[60:61], s[26:27], v[181:182]
	;; [unrolled: 1-line block ×3, first 2 shown]
	v_fma_f64 v[181:182], v[60:61], s[26:27], -v[181:182]
	v_fma_f64 v[203:204], v[62:63], s[36:37], v[54:55]
	v_fma_f64 v[54:55], v[62:63], s[28:29], v[54:55]
	;; [unrolled: 1-line block ×3, first 2 shown]
	v_add_f64 v[157:158], v[169:170], v[157:158]
	v_fma_f64 v[60:61], v[60:61], s[30:31], -v[149:150]
	v_fma_f64 v[149:150], v[84:85], s[30:31], -v[191:192]
	v_add_f64 v[151:152], v[151:152], v[167:168]
	v_add_f64 v[201:202], v[222:223], v[201:202]
	;; [unrolled: 1-line block ×4, first 2 shown]
	v_fma_f64 v[208:209], v[74:75], s[8:9], -v[218:219]
	v_mul_f64 v[50:51], v[145:146], s[10:11]
	v_mul_f64 v[216:217], v[133:134], s[38:39]
	v_fma_f64 v[232:233], v[108:109], s[44:45], v[185:186]
	v_add_f64 v[38:39], v[42:43], v[38:39]
	v_add_f64 v[36:37], v[40:41], v[36:37]
	;; [unrolled: 1-line block ×3, first 2 shown]
	v_fma_f64 v[42:43], v[58:59], s[36:37], v[187:188]
	v_add_f64 v[44:45], v[22:23], v[173:174]
	v_add_f64 v[46:47], v[20:21], v[46:47]
	;; [unrolled: 1-line block ×3, first 2 shown]
	v_fma_f64 v[165:166], v[58:59], s[22:23], v[193:194]
	v_fma_f64 v[187:188], v[70:71], s[42:43], v[195:196]
	;; [unrolled: 1-line block ×4, first 2 shown]
	v_add_f64 v[157:158], v[177:178], v[157:158]
	v_add_f64 v[48:49], v[22:23], v[48:49]
	v_add_f64 v[66:67], v[66:67], v[161:162]
	v_add_f64 v[151:152], v[183:184], v[151:152]
	v_add_f64 v[201:202], v[230:231], v[201:202]
	v_add_f64 v[169:170], v[234:235], v[169:170]
	v_fma_f64 v[161:162], v[84:85], s[18:19], v[52:53]
	v_add_f64 v[175:176], v[20:21], v[175:176]
	v_mul_f64 v[212:213], v[84:85], s[8:9]
	v_mul_f64 v[214:215], v[137:138], s[30:31]
	v_fma_f64 v[173:174], v[68:69], s[34:35], v[197:198]
	v_add_f64 v[34:35], v[34:35], v[38:39]
	v_add_f64 v[32:33], v[32:33], v[36:37]
	;; [unrolled: 1-line block ×3, first 2 shown]
	v_fma_f64 v[38:39], v[108:109], s[6:7], v[185:186]
	v_add_f64 v[40:41], v[42:43], v[44:45]
	v_fma_f64 v[44:45], v[120:121], s[8:9], -v[189:190]
	v_add_f64 v[46:47], v[149:150], v[46:47]
	v_add_f64 v[42:43], v[163:164], -v[153:154]
	v_fma_f64 v[163:164], v[58:59], s[16:17], v[193:194]
	v_add_f64 v[167:168], v[232:233], v[167:168]
	v_add_f64 v[64:65], v[159:160], -v[64:65]
	v_add_f64 v[157:158], v[171:172], v[157:158]
	v_fma_f64 v[171:172], v[74:75], s[24:25], -v[220:221]
	v_fma_f64 v[149:150], v[76:77], s[26:27], v[199:200]
	v_add_f64 v[151:152], v[208:209], v[151:152]
	v_fma_f64 v[159:160], v[108:109], s[4:5], v[50:51]
	v_add_f64 v[48:49], v[165:166], v[48:49]
	v_add_f64 v[165:166], v[191:192], v[201:202]
	;; [unrolled: 1-line block ×4, first 2 shown]
	v_fma_f64 v[175:176], v[120:121], s[10:11], v[216:217]
	v_fma_f64 v[50:51], v[108:109], s[38:39], v[50:51]
	v_add_f64 v[30:31], v[30:31], v[34:35]
	v_add_f64 v[28:29], v[28:29], v[32:33]
	;; [unrolled: 1-line block ×3, first 2 shown]
	v_fma_f64 v[179:180], v[76:77], s[26:27], -v[199:200]
	v_add_f64 v[32:33], v[187:188], v[36:37]
	v_add_f64 v[36:37], v[38:39], v[40:41]
	;; [unrolled: 1-line block ×3, first 2 shown]
	v_mul_f64 v[46:47], v[96:97], s[38:39]
	v_mul_f64 v[38:39], v[141:142], s[10:11]
	v_fma_f64 v[40:41], v[68:69], s[40:41], v[197:198]
	v_mul_f64 v[56:57], v[56:57], s[34:35]
	v_add_f64 v[155:156], v[22:23], v[155:156]
	v_fma_f64 v[153:154], v[70:71], s[20:21], v[195:196]
	v_add_f64 v[167:168], v[173:174], v[167:168]
	v_add_f64 v[173:174], v[20:21], v[181:182]
	v_add_f64 v[177:178], v[22:23], v[203:204]
	v_add_f64 v[62:63], v[20:21], v[62:63]
	v_add_f64 v[54:55], v[22:23], v[54:55]
	v_add_f64 v[60:61], v[20:21], v[60:61]
	v_add_f64 v[42:43], v[20:21], v[42:43]
	v_add_f64 v[22:23], v[22:23], v[66:67]
	v_add_f64 v[20:21], v[20:21], v[64:65]
	v_add_f64 v[26:27], v[26:27], v[30:31]
	v_add_f64 v[24:25], v[24:25], v[28:29]
	v_add_f64 v[34:35], v[163:164], v[34:35]
	v_mul_f64 v[163:164], v[147:148], s[8:9]
	v_mul_f64 v[28:29], v[147:148], s[24:25]
	;; [unrolled: 1-line block ×3, first 2 shown]
	v_add_f64 v[44:45], v[171:172], v[44:45]
	v_fma_f64 v[171:172], v[76:77], s[10:11], v[46:47]
	v_mul_f64 v[30:31], v[84:85], s[26:27]
	v_add_f64 v[151:152], v[179:180], v[151:152]
	v_mul_f64 v[179:180], v[145:146], s[24:25]
	v_mul_f64 v[64:65], v[141:142], s[24:25]
	v_fma_f64 v[66:67], v[68:69], s[36:37], v[214:215]
	v_add_f64 v[48:49], v[159:160], v[48:49]
	v_mul_f64 v[159:160], v[88:89], s[28:29]
	v_add_f64 v[36:37], v[40:41], v[36:37]
	v_fma_f64 v[40:41], v[70:71], s[4:5], v[38:39]
	v_fma_f64 v[38:39], v[70:71], s[38:39], v[38:39]
	v_add_f64 v[149:150], v[149:150], v[165:166]
	v_mul_f64 v[165:166], v[120:121], s[30:31]
	v_add_f64 v[161:162], v[175:176], v[161:162]
	v_mul_f64 v[175:176], v[145:146], s[30:31]
	v_mul_f64 v[145:146], v[145:146], s[26:27]
	v_add_f64 v[92:93], v[212:213], -v[92:93]
	v_fma_f64 v[46:47], v[76:77], s[10:11], -v[46:47]
	v_add_f64 v[116:117], v[116:117], v[163:164]
	v_add_f64 v[34:35], v[50:51], v[34:35]
	;; [unrolled: 1-line block ×3, first 2 shown]
	v_mul_f64 v[50:51], v[120:121], s[24:25]
	v_add_f64 v[169:170], v[171:172], v[169:170]
	v_fma_f64 v[171:172], v[58:59], s[40:41], v[28:29]
	v_fma_f64 v[28:29], v[58:59], s[34:35], v[28:29]
	v_add_f64 v[30:31], v[30:31], -v[130:131]
	v_mul_f64 v[133:134], v[133:134], s[42:43]
	v_fma_f64 v[185:186], v[84:85], s[24:25], v[56:57]
	v_fma_f64 v[56:57], v[84:85], s[24:25], -v[56:57]
	v_fma_f64 v[52:53], v[84:85], s[18:19], -v[52:53]
	v_mul_f64 v[58:59], v[137:138], s[18:19]
	v_add_f64 v[135:136], v[135:136], v[179:180]
	v_add_f64 v[153:154], v[153:154], v[157:158]
	v_fma_f64 v[157:158], v[70:71], s[34:35], v[64:65]
	v_add_f64 v[48:49], v[66:67], v[48:49]
	v_fma_f64 v[66:67], v[74:75], s[30:31], v[159:160]
	v_add_f64 v[40:41], v[40:41], v[167:168]
	v_mul_f64 v[167:168], v[74:75], s[26:27]
	v_add_f64 v[36:37], v[38:39], v[36:37]
	v_mul_f64 v[38:39], v[137:138], s[26:27]
	;; [unrolled: 2-line block ×3, first 2 shown]
	v_add_f64 v[139:140], v[139:140], v[155:156]
	v_add_f64 v[22:23], v[116:117], v[22:23]
	v_add_f64 v[86:87], v[165:166], -v[86:87]
	v_add_f64 v[171:172], v[171:172], v[177:178]
	v_fma_f64 v[177:178], v[108:109], s[20:21], v[145:146]
	v_fma_f64 v[108:109], v[108:109], s[42:43], v[145:146]
	v_add_f64 v[28:29], v[28:29], v[54:55]
	v_add_f64 v[20:21], v[92:93], v[20:21]
	v_fma_f64 v[181:182], v[68:69], s[28:29], v[214:215]
	v_add_f64 v[44:45], v[46:47], v[44:45]
	v_mul_f64 v[46:47], v[74:75], s[18:19]
	v_add_f64 v[50:51], v[50:51], -v[128:129]
	v_add_f64 v[30:31], v[30:31], v[42:43]
	v_fma_f64 v[183:184], v[120:121], s[10:11], -v[216:217]
	v_fma_f64 v[54:55], v[120:121], s[26:27], v[133:134]
	v_fma_f64 v[120:121], v[120:121], s[26:27], -v[133:134]
	v_mul_f64 v[88:89], v[88:89], s[38:39]
	v_add_f64 v[56:57], v[56:57], v[60:61]
	v_add_f64 v[52:53], v[52:53], v[173:174]
	;; [unrolled: 1-line block ×3, first 2 shown]
	v_mul_f64 v[147:148], v[141:142], s[30:31]
	v_add_f64 v[58:59], v[122:123], v[58:59]
	v_add_f64 v[135:136], v[135:136], v[139:140]
	;; [unrolled: 1-line block ×5, first 2 shown]
	v_mul_f64 v[157:158], v[76:77], s[18:19]
	v_add_f64 v[66:67], v[66:67], v[161:162]
	v_mul_f64 v[161:162], v[141:142], s[18:19]
	v_add_f64 v[28:29], v[108:109], v[28:29]
	v_mul_f64 v[141:142], v[141:142], s[8:9]
	v_fma_f64 v[122:123], v[68:69], s[38:39], v[137:138]
	v_add_f64 v[38:39], v[94:95], v[38:39]
	v_add_f64 v[22:23], v[112:113], v[22:23]
	v_add_f64 v[90:91], v[167:168], -v[90:91]
	v_add_f64 v[20:21], v[86:87], v[20:21]
	v_add_f64 v[34:35], v[181:182], v[34:35]
	v_mul_f64 v[181:182], v[76:77], s[30:31]
	v_add_f64 v[46:47], v[46:47], -v[104:105]
	v_add_f64 v[24:25], v[50:51], v[30:31]
	v_mul_f64 v[128:129], v[96:97], s[40:41]
	v_mul_f64 v[96:97], v[96:97], s[6:7]
	v_fma_f64 v[139:140], v[74:75], s[10:11], -v[88:89]
	v_add_f64 v[26:27], v[120:121], v[56:57]
	v_fma_f64 v[159:160], v[74:75], s[30:31], -v[159:160]
	v_add_f64 v[30:31], v[183:184], v[52:53]
	v_fma_f64 v[64:65], v[70:71], s[40:41], v[64:65]
	v_fma_f64 v[56:57], v[68:69], s[4:5], v[137:138]
	v_add_f64 v[68:69], v[177:178], v[171:172]
	v_fma_f64 v[74:75], v[74:75], s[10:11], v[88:89]
	v_add_f64 v[54:55], v[54:55], v[62:63]
	v_add_f64 v[94:95], v[124:125], v[147:148]
	;; [unrolled: 1-line block ×5, first 2 shown]
	v_mul_f64 v[173:174], v[78:79], s[24:25]
	v_mul_f64 v[145:146], v[106:107], s[36:37]
	;; [unrolled: 1-line block ×7, first 2 shown]
	v_fma_f64 v[86:87], v[70:71], s[6:7], v[141:142]
	v_add_f64 v[28:29], v[122:123], v[28:29]
	v_add_f64 v[106:107], v[110:111], v[161:162]
	;; [unrolled: 1-line block ×3, first 2 shown]
	v_add_f64 v[38:39], v[157:158], -v[100:101]
	v_add_f64 v[16:17], v[90:91], v[20:21]
	v_mul_f64 v[130:131], v[143:144], s[30:31]
	v_mul_f64 v[155:156], v[78:79], s[10:11]
	v_mul_f64 v[42:43], v[143:144], s[10:11]
	v_add_f64 v[104:105], v[181:182], -v[118:119]
	v_add_f64 v[18:19], v[46:47], v[24:25]
	v_mul_f64 v[179:180], v[143:144], s[8:9]
	v_mul_f64 v[52:53], v[143:144], s[18:19]
	v_fma_f64 v[88:89], v[76:77], s[8:9], -v[96:97]
	v_add_f64 v[20:21], v[139:140], v[26:27]
	v_fma_f64 v[50:51], v[76:77], s[24:25], -v[128:129]
	v_add_f64 v[24:25], v[159:160], v[30:31]
	v_fma_f64 v[108:109], v[76:77], s[24:25], v[128:129]
	v_add_f64 v[30:31], v[64:65], v[34:35]
	v_fma_f64 v[34:35], v[70:71], s[44:45], v[141:142]
	;; [unrolled: 2-line block ×3, first 2 shown]
	v_add_f64 v[54:55], v[74:75], v[54:55]
	v_add_f64 v[58:59], v[94:95], v[58:59]
	;; [unrolled: 1-line block ×4, first 2 shown]
	v_fma_f64 v[165:166], v[72:73], s[42:43], v[163:164]
	v_fma_f64 v[163:164], v[72:73], s[20:21], v[163:164]
	v_add_f64 v[28:29], v[86:87], v[28:29]
	v_add_f64 v[76:77], v[102:103], v[84:85]
	;; [unrolled: 1-line block ×3, first 2 shown]
	v_add_f64 v[86:87], v[173:174], -v[98:99]
	v_add_f64 v[16:17], v[38:39], v[16:17]
	v_fma_f64 v[175:176], v[72:73], s[28:29], v[130:131]
	v_add_f64 v[42:43], v[126:127], v[42:43]
	v_add_f64 v[74:75], v[155:156], -v[114:115]
	v_add_f64 v[96:97], v[104:105], v[18:19]
	v_fma_f64 v[26:27], v[72:73], s[44:45], v[179:180]
	v_fma_f64 v[68:69], v[72:73], s[22:23], v[52:53]
	v_fma_f64 v[70:71], v[78:79], s[18:19], -v[62:63]
	v_add_f64 v[20:21], v[88:89], v[20:21]
	v_fma_f64 v[64:65], v[78:79], s[8:9], -v[185:186]
	v_add_f64 v[24:25], v[50:51], v[24:25]
	v_fma_f64 v[92:93], v[78:79], s[26:27], v[133:134]
	v_fma_f64 v[133:134], v[78:79], s[26:27], -v[133:134]
	v_fma_f64 v[116:117], v[78:79], s[30:31], v[145:146]
	v_fma_f64 v[130:131], v[72:73], s[36:37], v[130:131]
	v_fma_f64 v[145:146], v[78:79], s[30:31], -v[145:146]
	v_fma_f64 v[60:61], v[72:73], s[6:7], v[179:180]
	v_fma_f64 v[50:51], v[78:79], s[8:9], v[185:186]
	v_add_f64 v[66:67], v[108:109], v[66:67]
	v_fma_f64 v[52:53], v[72:73], s[16:17], v[52:53]
	v_add_f64 v[46:47], v[34:35], v[46:47]
	;; [unrolled: 2-line block ×3, first 2 shown]
	v_add_f64 v[6:7], v[6:7], v[90:91]
	v_add_f64 v[4:5], v[4:5], v[94:95]
	;; [unrolled: 1-line block ×22, first 2 shown]
	v_mov_b32_e32 v48, 4
	v_lshlrev_b32_sdwa v48, v48, v207 dst_sel:DWORD dst_unused:UNUSED_PAD src0_sel:DWORD src1_sel:WORD_0
	ds_write_b128 v48, v[4:7]
	ds_write_b128 v48, v[36:39] offset:16
	ds_write_b128 v48, v[32:35] offset:32
	;; [unrolled: 1-line block ×12, first 2 shown]
.LBB0_7:
	s_or_b32 exec_lo, exec_lo, s33
	v_and_b32_e32 v4, 0xff, v206
	s_load_dwordx4 s[4:7], s[0:1], 0x0
	s_waitcnt lgkmcnt(0)
	s_barrier
	buffer_gl0_inv
	v_mul_lo_u16 v4, 0x4f, v4
	s_mov_b32 s26, 0xf8bb580b
	s_mov_b32 s18, 0x43842ef
	;; [unrolled: 1-line block ×4, first 2 shown]
	v_lshrrev_b16 v143, 10, v4
	s_mov_b32 s27, 0xbfe14ced
	s_mov_b32 s21, 0xbfed1bb4
	;; [unrolled: 1-line block ×4, first 2 shown]
	v_mul_lo_u16 v4, v143, 13
	s_mov_b32 s23, 0xbfe82f19
	s_mov_b32 s29, 0xbfd207e7
	;; [unrolled: 1-line block ×4, first 2 shown]
	v_sub_nc_u16 v4, v206, v4
	s_mov_b32 s16, 0x7f775887
	s_mov_b32 s17, 0xbfe4f49e
	;; [unrolled: 1-line block ×4, first 2 shown]
	v_and_b32_e32 v144, 0xff, v4
	s_mov_b32 s0, 0x640f44db
	s_mov_b32 s11, 0x3feaeb8c
	;; [unrolled: 1-line block ×4, first 2 shown]
	v_mul_u32_u24_e32 v4, 10, v144
	s_mov_b32 s37, 0x3fd207e7
	s_mov_b32 s36, s28
	;; [unrolled: 1-line block ×4, first 2 shown]
	v_lshlrev_b32_e32 v72, 4, v4
	s_mov_b32 s31, 0x3fe14ced
	s_mov_b32 s30, s26
	s_clause 0x5
	global_load_dwordx4 v[24:27], v72, s[2:3]
	global_load_dwordx4 v[20:23], v72, s[2:3] offset:16
	global_load_dwordx4 v[8:11], v72, s[2:3] offset:32
	;; [unrolled: 1-line block ×5, first 2 shown]
	ds_read_b128 v[28:31], v205 offset:832
	ds_read_b128 v[32:35], v205 offset:1664
	;; [unrolled: 1-line block ×3, first 2 shown]
	ds_read_b128 v[100:103], v205
	s_waitcnt vmcnt(5) lgkmcnt(3)
	v_mul_f64 v[40:41], v[30:31], v[26:27]
	v_mul_f64 v[42:43], v[28:29], v[26:27]
	s_waitcnt vmcnt(4) lgkmcnt(2)
	v_mul_f64 v[44:45], v[34:35], v[22:23]
	v_mul_f64 v[46:47], v[32:33], v[22:23]
	;; [unrolled: 3-line block ×3, first 2 shown]
	v_fma_f64 v[88:89], v[28:29], v[24:25], -v[40:41]
	v_fma_f64 v[90:91], v[30:31], v[24:25], v[42:43]
	ds_read_b128 v[28:31], v205 offset:3328
	v_fma_f64 v[44:45], v[32:33], v[20:21], -v[44:45]
	v_fma_f64 v[46:47], v[34:35], v[20:21], v[46:47]
	ds_read_b128 v[32:35], v205 offset:4160
	v_fma_f64 v[48:49], v[36:37], v[8:9], -v[48:49]
	v_fma_f64 v[50:51], v[38:39], v[8:9], v[50:51]
	s_waitcnt vmcnt(2) lgkmcnt(1)
	v_mul_f64 v[40:41], v[30:31], v[6:7]
	v_mul_f64 v[36:37], v[28:29], v[6:7]
	s_waitcnt vmcnt(1) lgkmcnt(0)
	v_mul_f64 v[38:39], v[34:35], v[18:19]
	v_fma_f64 v[52:53], v[28:29], v[4:5], -v[40:41]
	v_mul_f64 v[28:29], v[32:33], v[18:19]
	v_fma_f64 v[54:55], v[30:31], v[4:5], v[36:37]
	v_fma_f64 v[56:57], v[32:33], v[16:17], -v[38:39]
	v_fma_f64 v[58:59], v[34:35], v[16:17], v[28:29]
	ds_read_b128 v[28:31], v205 offset:4992
	ds_read_b128 v[36:39], v205 offset:5824
	s_waitcnt vmcnt(0) lgkmcnt(1)
	v_mul_f64 v[32:33], v[30:31], v[14:15]
	v_fma_f64 v[60:61], v[28:29], v[12:13], -v[32:33]
	v_mul_f64 v[28:29], v[28:29], v[14:15]
	v_add_f64 v[175:176], v[56:57], -v[60:61]
	v_fma_f64 v[62:63], v[30:31], v[12:13], v[28:29]
	s_clause 0x1
	global_load_dwordx4 v[28:31], v72, s[2:3] offset:96
	global_load_dwordx4 v[32:35], v72, s[2:3] offset:112
	v_add_f64 v[171:172], v[56:57], v[60:61]
	v_mul_f64 v[179:180], v[175:176], s[28:29]
	v_add_f64 v[169:170], v[58:59], -v[62:63]
	v_add_f64 v[177:178], v[58:59], v[62:63]
	v_mul_f64 v[173:174], v[169:170], s[28:29]
	s_waitcnt vmcnt(1) lgkmcnt(0)
	v_mul_f64 v[40:41], v[38:39], v[30:31]
	v_fma_f64 v[64:65], v[36:37], v[28:29], -v[40:41]
	v_mul_f64 v[36:37], v[36:37], v[30:31]
	v_add_f64 v[157:158], v[52:53], v[64:65]
	v_fma_f64 v[66:67], v[38:39], v[28:29], v[36:37]
	ds_read_b128 v[36:39], v205 offset:6656
	ds_read_b128 v[74:77], v205 offset:7488
	s_waitcnt vmcnt(0) lgkmcnt(1)
	v_mul_f64 v[40:41], v[38:39], v[34:35]
	v_add_f64 v[163:164], v[54:55], v[66:67]
	v_fma_f64 v[68:69], v[36:37], v[32:33], -v[40:41]
	v_mul_f64 v[36:37], v[36:37], v[34:35]
	v_fma_f64 v[70:71], v[38:39], v[32:33], v[36:37]
	s_clause 0x1
	global_load_dwordx4 v[36:39], v72, s[2:3] offset:128
	global_load_dwordx4 v[40:43], v72, s[2:3] offset:144
	ds_read_b128 v[84:87], v205 offset:8320
	s_waitcnt vmcnt(0) lgkmcnt(0)
	s_barrier
	buffer_gl0_inv
	v_mul_f64 v[72:73], v[76:77], v[38:39]
	v_mul_f64 v[78:79], v[86:87], v[42:43]
	v_fma_f64 v[72:73], v[74:75], v[36:37], -v[72:73]
	v_mul_f64 v[74:75], v[74:75], v[38:39]
	v_fma_f64 v[78:79], v[84:85], v[40:41], -v[78:79]
	v_fma_f64 v[74:75], v[76:77], v[36:37], v[74:75]
	v_mul_f64 v[76:77], v[84:85], v[42:43]
	v_add_f64 v[98:99], v[88:89], v[78:79]
	v_fma_f64 v[76:77], v[86:87], v[40:41], v[76:77]
	v_add_f64 v[84:85], v[90:91], -v[76:77]
	v_add_f64 v[118:119], v[90:91], v[76:77]
	v_mul_f64 v[86:87], v[84:85], s[26:27]
	v_mul_f64 v[92:93], v[84:85], s[20:21]
	v_mul_f64 v[94:95], v[84:85], s[18:19]
	v_mul_f64 v[96:97], v[84:85], s[22:23]
	v_mul_f64 v[84:85], v[84:85], s[28:29]
	v_fma_f64 v[104:105], v[98:99], s[10:11], -v[86:87]
	v_fma_f64 v[86:87], v[98:99], s[10:11], v[86:87]
	v_fma_f64 v[106:107], v[98:99], s[8:9], -v[92:93]
	v_fma_f64 v[112:113], v[98:99], s[16:17], -v[96:97]
	;; [unrolled: 1-line block ×3, first 2 shown]
	v_fma_f64 v[130:131], v[98:99], s[24:25], v[84:85]
	v_add_f64 v[84:85], v[88:89], -v[78:79]
	v_fma_f64 v[114:115], v[98:99], s[16:17], v[96:97]
	v_fma_f64 v[92:93], v[98:99], s[8:9], v[92:93]
	v_fma_f64 v[108:109], v[98:99], s[0:1], -v[94:95]
	v_fma_f64 v[110:111], v[98:99], s[0:1], v[94:95]
	v_add_f64 v[149:150], v[100:101], v[104:105]
	v_add_f64 v[104:105], v[44:45], v[72:73]
	;; [unrolled: 1-line block ×4, first 2 shown]
	v_mul_f64 v[96:97], v[84:85], s[20:21]
	v_mul_f64 v[98:99], v[84:85], s[18:19]
	v_mul_f64 v[94:95], v[84:85], s[26:27]
	v_mul_f64 v[116:117], v[84:85], s[22:23]
	v_mul_f64 v[84:85], v[84:85], s[28:29]
	v_add_f64 v[126:127], v[100:101], v[108:109]
	v_fma_f64 v[122:123], v[118:119], s[8:9], v[96:97]
	v_fma_f64 v[139:140], v[118:119], s[0:1], -v[98:99]
	v_fma_f64 v[124:125], v[118:119], s[8:9], -v[96:97]
	v_add_f64 v[96:97], v[100:101], v[88:89]
	v_fma_f64 v[120:121], v[118:119], s[10:11], v[94:95]
	v_fma_f64 v[94:95], v[118:119], s[10:11], -v[94:95]
	v_fma_f64 v[137:138], v[118:119], s[0:1], v[98:99]
	v_fma_f64 v[141:142], v[118:119], s[16:17], v[116:117]
	v_fma_f64 v[116:117], v[118:119], s[16:17], -v[116:117]
	v_fma_f64 v[145:146], v[118:119], s[24:25], v[84:85]
	v_fma_f64 v[147:148], v[118:119], s[24:25], -v[84:85]
	v_add_f64 v[118:119], v[100:101], v[114:115]
	v_add_f64 v[114:115], v[44:45], -v[72:73]
	v_add_f64 v[98:99], v[102:103], v[90:91]
	v_add_f64 v[90:91], v[100:101], v[110:111]
	;; [unrolled: 1-line block ×5, first 2 shown]
	v_add_f64 v[112:113], v[46:47], -v[74:75]
	v_add_f64 v[88:89], v[102:103], v[139:140]
	v_add_f64 v[151:152], v[102:103], v[120:121]
	;; [unrolled: 1-line block ×8, first 2 shown]
	v_add_f64 v[137:138], v[50:51], -v[70:71]
	v_mul_f64 v[141:142], v[114:115], s[20:21]
	v_add_f64 v[108:109], v[102:103], v[145:146]
	v_add_f64 v[116:117], v[102:103], v[116:117]
	;; [unrolled: 1-line block ×4, first 2 shown]
	v_mul_f64 v[139:140], v[112:113], s[20:21]
	s_mov_b32 s21, 0x3fed1bb4
	v_add_f64 v[44:45], v[44:45], v[48:49]
	v_fma_f64 v[106:107], v[104:105], s[8:9], -v[139:140]
	v_fma_f64 v[139:140], v[104:105], s[8:9], v[139:140]
	v_add_f64 v[44:45], v[44:45], v[52:53]
	v_add_f64 v[130:131], v[106:107], v[149:150]
	;; [unrolled: 1-line block ×3, first 2 shown]
	v_mul_f64 v[149:150], v[137:138], s[18:19]
	v_add_f64 v[86:87], v[139:140], v[86:87]
	v_add_f64 v[46:47], v[98:99], v[46:47]
	;; [unrolled: 1-line block ×3, first 2 shown]
	v_fma_f64 v[128:129], v[106:107], s[8:9], v[141:142]
	v_fma_f64 v[139:140], v[106:107], s[8:9], -v[141:142]
	v_fma_f64 v[141:142], v[177:178], s[24:25], -v[179:180]
	v_add_f64 v[46:47], v[46:47], v[50:51]
	v_add_f64 v[44:45], v[44:45], v[60:61]
	;; [unrolled: 1-line block ×4, first 2 shown]
	v_add_f64 v[151:152], v[48:49], -v[68:69]
	v_add_f64 v[84:85], v[139:140], v[84:85]
	v_add_f64 v[46:47], v[46:47], v[54:55]
	v_mov_b32_e32 v48, 0x8f
	v_mul_u32_u24_sdwa v48, v143, v48 dst_sel:DWORD dst_unused:UNUSED_PAD src0_sel:WORD_0 src1_sel:DWORD
	v_add_f64 v[44:45], v[44:45], v[64:65]
	v_add_lshl_u32 v208, v48, v144, 4
	v_fma_f64 v[147:148], v[128:129], s[0:1], -v[149:150]
	v_mul_f64 v[153:154], v[151:152], s[18:19]
	v_fma_f64 v[139:140], v[128:129], s[0:1], v[149:150]
	v_add_f64 v[46:47], v[46:47], v[58:59]
	v_add_f64 v[44:45], v[44:45], v[68:69]
	v_add_f64 v[147:148], v[147:148], v[130:131]
	v_add_f64 v[130:131], v[50:51], v[70:71]
	v_add_f64 v[86:87], v[139:140], v[86:87]
	v_add_f64 v[46:47], v[46:47], v[62:63]
	v_add_f64 v[44:45], v[44:45], v[72:73]
	v_fma_f64 v[155:156], v[130:131], s[0:1], v[153:154]
	v_fma_f64 v[139:140], v[130:131], s[0:1], -v[153:154]
	v_add_f64 v[46:47], v[46:47], v[66:67]
	v_add_f64 v[44:45], v[44:45], v[78:79]
	;; [unrolled: 1-line block ×3, first 2 shown]
	v_add_f64 v[155:156], v[54:55], -v[66:67]
	v_add_f64 v[84:85], v[139:140], v[84:85]
	v_add_f64 v[46:47], v[46:47], v[70:71]
	v_mul_f64 v[159:160], v[155:156], s[22:23]
	v_add_f64 v[46:47], v[46:47], v[74:75]
	v_fma_f64 v[161:162], v[157:158], s[16:17], -v[159:160]
	v_fma_f64 v[139:140], v[157:158], s[16:17], v[159:160]
	v_add_f64 v[46:47], v[46:47], v[76:77]
	v_add_f64 v[147:148], v[161:162], v[147:148]
	v_add_f64 v[161:162], v[52:53], -v[64:65]
	v_add_f64 v[86:87], v[139:140], v[86:87]
	v_mul_f64 v[165:166], v[161:162], s[22:23]
	v_fma_f64 v[139:140], v[163:164], s[16:17], -v[165:166]
	v_fma_f64 v[167:168], v[163:164], s[16:17], v[165:166]
	v_add_f64 v[139:140], v[139:140], v[84:85]
	v_fma_f64 v[84:85], v[171:172], s[24:25], v[173:174]
	v_add_f64 v[167:168], v[167:168], v[145:146]
	v_fma_f64 v[145:146], v[171:172], s[24:25], -v[173:174]
	v_mul_f64 v[173:174], v[169:170], s[30:31]
	v_add_f64 v[84:85], v[84:85], v[86:87]
	v_add_f64 v[86:87], v[141:142], v[139:140]
	v_mul_f64 v[139:140], v[112:113], s[22:23]
	v_add_f64 v[145:146], v[145:146], v[147:148]
	v_fma_f64 v[147:148], v[177:178], s[24:25], v[179:180]
	v_mul_f64 v[179:180], v[175:176], s[30:31]
	v_fma_f64 v[141:142], v[104:105], s[16:17], -v[139:140]
	v_fma_f64 v[139:140], v[104:105], s[16:17], v[139:140]
	v_add_f64 v[147:148], v[147:148], v[167:168]
	v_add_f64 v[135:136], v[141:142], v[135:136]
	v_mul_f64 v[141:142], v[114:115], s[22:23]
	v_add_f64 v[94:95], v[139:140], v[94:95]
	v_fma_f64 v[149:150], v[106:107], s[16:17], v[141:142]
	v_fma_f64 v[139:140], v[106:107], s[16:17], -v[141:142]
	v_fma_f64 v[141:142], v[177:178], s[10:11], -v[179:180]
	v_add_f64 v[133:134], v[149:150], v[133:134]
	v_mul_f64 v[149:150], v[137:138], s[36:37]
	v_add_f64 v[92:93], v[139:140], v[92:93]
	v_fma_f64 v[153:154], v[128:129], s[24:25], -v[149:150]
	v_fma_f64 v[139:140], v[128:129], s[24:25], v[149:150]
	v_add_f64 v[135:136], v[153:154], v[135:136]
	v_mul_f64 v[153:154], v[151:152], s[36:37]
	v_add_f64 v[94:95], v[139:140], v[94:95]
	v_fma_f64 v[159:160], v[130:131], s[24:25], v[153:154]
	v_fma_f64 v[139:140], v[130:131], s[24:25], -v[153:154]
	v_add_f64 v[133:134], v[159:160], v[133:134]
	v_mul_f64 v[159:160], v[155:156], s[34:35]
	v_add_f64 v[92:93], v[139:140], v[92:93]
	v_fma_f64 v[165:166], v[157:158], s[0:1], -v[159:160]
	v_fma_f64 v[139:140], v[157:158], s[0:1], v[159:160]
	v_add_f64 v[135:136], v[165:166], v[135:136]
	v_mul_f64 v[165:166], v[161:162], s[34:35]
	v_add_f64 v[94:95], v[139:140], v[94:95]
	v_fma_f64 v[139:140], v[163:164], s[0:1], -v[165:166]
	v_fma_f64 v[167:168], v[163:164], s[0:1], v[165:166]
	v_add_f64 v[139:140], v[139:140], v[92:93]
	v_fma_f64 v[92:93], v[171:172], s[10:11], v[173:174]
	v_add_f64 v[167:168], v[167:168], v[133:134]
	v_fma_f64 v[133:134], v[171:172], s[10:11], -v[173:174]
	v_mul_f64 v[173:174], v[169:170], s[22:23]
	v_add_f64 v[92:93], v[92:93], v[94:95]
	v_add_f64 v[94:95], v[141:142], v[139:140]
	v_mul_f64 v[139:140], v[112:113], s[36:37]
	v_add_f64 v[133:134], v[133:134], v[135:136]
	v_fma_f64 v[135:136], v[177:178], s[10:11], v[179:180]
	v_mul_f64 v[179:180], v[175:176], s[22:23]
	v_fma_f64 v[141:142], v[104:105], s[24:25], -v[139:140]
	v_fma_f64 v[139:140], v[104:105], s[24:25], v[139:140]
	v_add_f64 v[135:136], v[135:136], v[167:168]
	v_add_f64 v[126:127], v[141:142], v[126:127]
	v_mul_f64 v[141:142], v[114:115], s[36:37]
	v_add_f64 v[90:91], v[139:140], v[90:91]
	v_fma_f64 v[149:150], v[106:107], s[24:25], v[141:142]
	v_fma_f64 v[139:140], v[106:107], s[24:25], -v[141:142]
	v_fma_f64 v[141:142], v[177:178], s[16:17], -v[179:180]
	v_add_f64 v[124:125], v[149:150], v[124:125]
	v_mul_f64 v[149:150], v[137:138], s[20:21]
	v_add_f64 v[88:89], v[139:140], v[88:89]
	v_fma_f64 v[153:154], v[128:129], s[8:9], -v[149:150]
	v_fma_f64 v[139:140], v[128:129], s[8:9], v[149:150]
	v_add_f64 v[126:127], v[153:154], v[126:127]
	v_mul_f64 v[153:154], v[151:152], s[20:21]
	v_add_f64 v[90:91], v[139:140], v[90:91]
	v_fma_f64 v[159:160], v[130:131], s[8:9], v[153:154]
	v_fma_f64 v[139:140], v[130:131], s[8:9], -v[153:154]
	v_add_f64 v[124:125], v[159:160], v[124:125]
	v_mul_f64 v[159:160], v[155:156], s[26:27]
	v_add_f64 v[88:89], v[139:140], v[88:89]
	v_fma_f64 v[165:166], v[157:158], s[10:11], -v[159:160]
	v_fma_f64 v[139:140], v[157:158], s[10:11], v[159:160]
	v_add_f64 v[126:127], v[165:166], v[126:127]
	v_mul_f64 v[165:166], v[161:162], s[26:27]
	v_add_f64 v[90:91], v[139:140], v[90:91]
	v_fma_f64 v[139:140], v[163:164], s[10:11], -v[165:166]
	v_fma_f64 v[167:168], v[163:164], s[10:11], v[165:166]
	v_add_f64 v[139:140], v[139:140], v[88:89]
	v_fma_f64 v[88:89], v[171:172], s[16:17], v[173:174]
	v_add_f64 v[167:168], v[167:168], v[124:125]
	v_fma_f64 v[124:125], v[171:172], s[16:17], -v[173:174]
	v_mul_f64 v[173:174], v[169:170], s[20:21]
	v_add_f64 v[88:89], v[88:89], v[90:91]
	v_add_f64 v[90:91], v[141:142], v[139:140]
	v_mul_f64 v[139:140], v[112:113], s[34:35]
	v_add_f64 v[124:125], v[124:125], v[126:127]
	v_fma_f64 v[126:127], v[177:178], s[16:17], v[179:180]
	v_mul_f64 v[179:180], v[175:176], s[20:21]
	v_mul_f64 v[112:113], v[112:113], s[30:31]
	v_fma_f64 v[141:142], v[104:105], s[0:1], -v[139:140]
	v_fma_f64 v[139:140], v[104:105], s[0:1], v[139:140]
	v_add_f64 v[126:127], v[126:127], v[167:168]
	v_add_f64 v[122:123], v[141:142], v[122:123]
	v_mul_f64 v[141:142], v[114:115], s[34:35]
	v_add_f64 v[118:119], v[139:140], v[118:119]
	v_mul_f64 v[114:115], v[114:115], s[30:31]
	v_fma_f64 v[149:150], v[106:107], s[0:1], v[141:142]
	v_fma_f64 v[139:140], v[106:107], s[0:1], -v[141:142]
	v_fma_f64 v[141:142], v[177:178], s[8:9], -v[179:180]
	v_add_f64 v[120:121], v[149:150], v[120:121]
	v_mul_f64 v[149:150], v[137:138], s[26:27]
	v_add_f64 v[116:117], v[139:140], v[116:117]
	v_mul_f64 v[137:138], v[137:138], s[22:23]
	v_fma_f64 v[153:154], v[128:129], s[10:11], -v[149:150]
	v_fma_f64 v[139:140], v[128:129], s[10:11], v[149:150]
	v_add_f64 v[122:123], v[153:154], v[122:123]
	v_mul_f64 v[153:154], v[151:152], s[26:27]
	v_add_f64 v[118:119], v[139:140], v[118:119]
	v_fma_f64 v[159:160], v[130:131], s[10:11], v[153:154]
	v_fma_f64 v[139:140], v[130:131], s[10:11], -v[153:154]
	v_mul_f64 v[153:154], v[169:170], s[18:19]
	v_add_f64 v[120:121], v[159:160], v[120:121]
	v_mul_f64 v[159:160], v[155:156], s[28:29]
	v_add_f64 v[116:117], v[139:140], v[116:117]
	v_fma_f64 v[165:166], v[157:158], s[24:25], -v[159:160]
	v_fma_f64 v[139:140], v[157:158], s[24:25], v[159:160]
	v_add_f64 v[122:123], v[165:166], v[122:123]
	v_mul_f64 v[165:166], v[161:162], s[28:29]
	v_add_f64 v[118:119], v[139:140], v[118:119]
	v_fma_f64 v[139:140], v[163:164], s[24:25], -v[165:166]
	v_fma_f64 v[167:168], v[163:164], s[24:25], v[165:166]
	v_add_f64 v[139:140], v[139:140], v[116:117]
	v_fma_f64 v[116:117], v[171:172], s[8:9], v[173:174]
	v_add_f64 v[167:168], v[167:168], v[120:121]
	v_fma_f64 v[120:121], v[171:172], s[8:9], -v[173:174]
	v_add_f64 v[116:117], v[116:117], v[118:119]
	v_add_f64 v[118:119], v[141:142], v[139:140]
	v_fma_f64 v[139:140], v[104:105], s[10:11], -v[112:113]
	v_fma_f64 v[104:105], v[104:105], s[10:11], v[112:113]
	v_fma_f64 v[112:113], v[128:129], s[16:17], v[137:138]
	v_add_f64 v[120:121], v[120:121], v[122:123]
	v_fma_f64 v[122:123], v[177:178], s[8:9], v[179:180]
	v_add_f64 v[110:111], v[139:140], v[110:111]
	v_fma_f64 v[139:140], v[106:107], s[10:11], v[114:115]
	v_fma_f64 v[106:107], v[106:107], s[10:11], -v[114:115]
	v_add_f64 v[100:101], v[104:105], v[100:101]
	v_add_f64 v[122:123], v[122:123], v[167:168]
	v_add_f64 v[108:109], v[139:140], v[108:109]
	v_fma_f64 v[139:140], v[128:129], s[16:17], -v[137:138]
	v_add_f64 v[102:103], v[106:107], v[102:103]
	v_add_f64 v[100:101], v[112:113], v[100:101]
	v_fma_f64 v[112:113], v[171:172], s[0:1], v[153:154]
	v_add_f64 v[110:111], v[139:140], v[110:111]
	v_mul_f64 v[139:140], v[151:152], s[22:23]
	v_fma_f64 v[141:142], v[130:131], s[16:17], v[139:140]
	v_fma_f64 v[114:115], v[130:131], s[16:17], -v[139:140]
	v_add_f64 v[108:109], v[141:142], v[108:109]
	v_mul_f64 v[141:142], v[155:156], s[20:21]
	v_mul_f64 v[155:156], v[175:176], s[18:19]
	v_add_f64 v[102:103], v[114:115], v[102:103]
	v_fma_f64 v[149:150], v[157:158], s[8:9], -v[141:142]
	v_fma_f64 v[104:105], v[157:158], s[8:9], v[141:142]
	v_fma_f64 v[114:115], v[177:178], s[0:1], -v[155:156]
	v_add_f64 v[110:111], v[149:150], v[110:111]
	v_mul_f64 v[149:150], v[161:162], s[20:21]
	v_add_f64 v[100:101], v[104:105], v[100:101]
	v_fma_f64 v[151:152], v[163:164], s[8:9], v[149:150]
	v_fma_f64 v[106:107], v[163:164], s[8:9], -v[149:150]
	v_add_f64 v[100:101], v[112:113], v[100:101]
	v_add_f64 v[151:152], v[151:152], v[108:109]
	v_fma_f64 v[108:109], v[171:172], s[0:1], -v[153:154]
	v_add_f64 v[102:103], v[106:107], v[102:103]
	v_add_f64 v[108:109], v[108:109], v[110:111]
	v_fma_f64 v[110:111], v[177:178], s[0:1], v[155:156]
	v_add_f64 v[102:103], v[114:115], v[102:103]
	v_cmp_gt_u16_e64 s0, 39, v206
	v_add_f64 v[110:111], v[110:111], v[151:152]
	ds_write_b128 v208, v[145:148] offset:208
	ds_write_b128 v208, v[133:136] offset:416
	;; [unrolled: 1-line block ×10, first 2 shown]
	ds_write_b128 v208, v[44:47]
	s_waitcnt lgkmcnt(0)
	s_barrier
	buffer_gl0_inv
	ds_read_b128 v[96:99], v205
	ds_read_b128 v[100:103], v205 offset:832
	ds_read_b128 v[116:119], v205 offset:2288
	;; [unrolled: 1-line block ×7, first 2 shown]
	s_and_saveexec_b32 s1, s0
	s_cbranch_execz .LBB0_9
; %bb.8:
	ds_read_b128 v[88:91], v205 offset:1664
	ds_read_b128 v[92:95], v205 offset:3952
	;; [unrolled: 1-line block ×4, first 2 shown]
.LBB0_9:
	s_or_b32 exec_lo, exec_lo, s1
	v_mad_u64_u32 v[44:45], null, v206, 48, s[2:3]
	v_add_nc_u32_e32 v50, 0x68, v206
	v_subrev_nc_u32_e32 v51, 39, v206
	v_cndmask_b32_e64 v50, v51, v50, s0
	v_add_co_u32 v46, s1, 0x820, v44
	v_add_co_ci_u32_e64 v47, s1, 0, v45, s1
	v_add_co_u32 v48, s1, 0x800, v44
	v_add_co_ci_u32_e64 v49, s1, 0, v45, s1
	s_clause 0x1
	global_load_dwordx4 v[56:59], v[46:47], off offset:32
	global_load_dwordx4 v[60:63], v[46:47], off offset:16
	v_add_co_u32 v46, s1, 0x1000, v44
	v_mul_i32_i24_e32 v51, 48, v50
	v_add_co_ci_u32_e64 v47, s1, 0, v45, s1
	v_add_co_u32 v44, s1, 0x11e0, v44
	v_mul_hi_i32_i24_e32 v50, 48, v50
	v_add_co_ci_u32_e64 v45, s1, 0, v45, s1
	v_add_co_u32 v51, s1, s2, v51
	v_add_co_ci_u32_e64 v50, s1, s3, v50, s1
	global_load_dwordx4 v[64:67], v[46:47], off offset:480
	v_add_co_u32 v46, s1, 0x800, v51
	v_add_co_ci_u32_e64 v47, s1, 0, v50, s1
	s_clause 0x1
	global_load_dwordx4 v[72:75], v[48:49], off offset:32
	global_load_dwordx4 v[68:71], v[44:45], off offset:16
	v_add_co_u32 v48, s1, 0x820, v51
	v_add_co_ci_u32_e64 v49, s1, 0, v50, s1
	s_clause 0x3
	global_load_dwordx4 v[76:79], v[44:45], off offset:32
	global_load_dwordx4 v[44:47], v[46:47], off offset:32
	;; [unrolled: 1-line block ×4, first 2 shown]
	s_waitcnt vmcnt(8) lgkmcnt(1)
	v_mul_f64 v[137:138], v[126:127], v[58:59]
	s_waitcnt vmcnt(7)
	v_mul_f64 v[133:134], v[122:123], v[62:63]
	v_mul_f64 v[135:136], v[120:121], v[62:63]
	;; [unrolled: 1-line block ×3, first 2 shown]
	s_waitcnt vmcnt(6)
	v_mul_f64 v[141:142], v[106:107], v[66:67]
	v_mul_f64 v[143:144], v[104:105], v[66:67]
	s_waitcnt vmcnt(5)
	v_mul_f64 v[128:129], v[118:119], v[74:75]
	v_mul_f64 v[130:131], v[116:117], v[74:75]
	;; [unrolled: 3-line block ×3, first 2 shown]
	s_waitcnt vmcnt(3) lgkmcnt(0)
	v_mul_f64 v[149:150], v[114:115], v[78:79]
	v_mul_f64 v[151:152], v[112:113], v[78:79]
	s_waitcnt vmcnt(2)
	v_mul_f64 v[153:154], v[94:95], v[46:47]
	v_mul_f64 v[155:156], v[92:93], v[46:47]
	s_waitcnt vmcnt(1)
	;; [unrolled: 3-line block ×3, first 2 shown]
	v_mul_f64 v[161:162], v[82:83], v[50:51]
	v_mul_f64 v[163:164], v[80:81], v[50:51]
	v_fma_f64 v[120:121], v[120:121], v[60:61], -v[133:134]
	v_fma_f64 v[122:123], v[122:123], v[60:61], v[135:136]
	v_fma_f64 v[124:125], v[124:125], v[56:57], -v[137:138]
	v_fma_f64 v[126:127], v[126:127], v[56:57], v[139:140]
	;; [unrolled: 2-line block ×9, first 2 shown]
	v_add_f64 v[120:121], v[96:97], -v[120:121]
	v_add_f64 v[122:123], v[98:99], -v[122:123]
	;; [unrolled: 1-line block ×12, first 2 shown]
	v_fma_f64 v[84:85], v[96:97], 2.0, -v[120:121]
	v_fma_f64 v[86:87], v[98:99], 2.0, -v[122:123]
	;; [unrolled: 1-line block ×8, first 2 shown]
	v_add_f64 v[116:117], v[120:121], -v[126:127]
	v_add_f64 v[118:119], v[122:123], v[124:125]
	v_fma_f64 v[145:146], v[88:89], 2.0, -v[137:138]
	v_fma_f64 v[147:148], v[90:91], 2.0, -v[139:140]
	;; [unrolled: 1-line block ×4, first 2 shown]
	v_add_f64 v[100:101], v[133:134], -v[110:111]
	v_add_f64 v[102:103], v[135:136], v[108:109]
	v_add_f64 v[88:89], v[137:138], -v[82:83]
	v_add_f64 v[124:125], v[84:85], -v[96:97]
	;; [unrolled: 1-line block ×5, first 2 shown]
	v_fma_f64 v[128:129], v[120:121], 2.0, -v[116:117]
	v_fma_f64 v[130:131], v[122:123], 2.0, -v[118:119]
	v_add_f64 v[92:93], v[145:146], -v[90:91]
	v_add_f64 v[94:95], v[147:148], -v[94:95]
	v_add_f64 v[90:91], v[139:140], v[80:81]
	v_fma_f64 v[112:113], v[133:134], 2.0, -v[100:101]
	v_fma_f64 v[114:115], v[135:136], 2.0, -v[102:103]
	;; [unrolled: 1-line block ×7, first 2 shown]
	ds_write_b128 v205, v[84:87]
	ds_write_b128 v205, v[128:131] offset:2288
	ds_write_b128 v205, v[124:127] offset:4576
	;; [unrolled: 1-line block ×7, first 2 shown]
	v_fma_f64 v[104:105], v[145:146], 2.0, -v[92:93]
	v_fma_f64 v[106:107], v[147:148], 2.0, -v[94:95]
	;; [unrolled: 1-line block ×3, first 2 shown]
	s_and_saveexec_b32 s1, s0
	s_cbranch_execz .LBB0_11
; %bb.10:
	ds_write_b128 v205, v[104:107] offset:1664
	ds_write_b128 v205, v[96:99] offset:3952
	ds_write_b128 v205, v[92:95] offset:6240
	ds_write_b128 v205, v[88:91] offset:8528
.LBB0_11:
	s_or_b32 exec_lo, exec_lo, s1
	s_waitcnt lgkmcnt(0)
	s_barrier
	buffer_gl0_inv
	s_and_saveexec_b32 s2, vcc_lo
	s_cbranch_execz .LBB0_13
; %bb.12:
	v_add_co_u32 v80, s1, s14, v205
	v_add_co_ci_u32_e64 v81, null, s15, 0, s1
	v_add_co_u32 v82, s1, 0x2000, v80
	v_add_co_ci_u32_e64 v83, s1, 0, v81, s1
	global_load_dwordx4 v[133:136], v[82:83], off offset:960
	v_add_co_u32 v82, s1, 0x23c0, v80
	v_add_co_ci_u32_e64 v83, s1, 0, v81, s1
	s_clause 0x1
	global_load_dwordx4 v[137:140], v[82:83], off offset:704
	global_load_dwordx4 v[141:144], v[82:83], off offset:1408
	v_add_co_u32 v82, s1, 0x2800, v80
	v_add_co_ci_u32_e64 v83, s1, 0, v81, s1
	s_clause 0x1
	global_load_dwordx4 v[145:148], v[82:83], off offset:1024
	;; [unrolled: 5-line block ×3, first 2 shown]
	global_load_dwordx4 v[157:160], v[82:83], off offset:1088
	global_load_dwordx4 v[161:164], v[82:83], off offset:1792
	v_add_co_u32 v82, s1, 0x3800, v80
	v_add_co_ci_u32_e64 v83, s1, 0, v81, s1
	s_clause 0x1
	global_load_dwordx4 v[165:168], v[82:83], off offset:448
	global_load_dwordx4 v[169:172], v[82:83], off offset:1152
	ds_read_b128 v[173:176], v205
	ds_read_b128 v[177:180], v205 offset:704
	v_add_co_u32 v185, s1, 0x4000, v80
	v_add_co_ci_u32_e64 v186, s1, 0, v81, s1
	s_waitcnt vmcnt(9) lgkmcnt(1)
	v_mul_f64 v[181:182], v[175:176], v[135:136]
	v_mul_f64 v[135:136], v[173:174], v[135:136]
	v_fma_f64 v[173:174], v[173:174], v[133:134], -v[181:182]
	s_waitcnt vmcnt(8) lgkmcnt(0)
	v_mul_f64 v[181:182], v[179:180], v[139:140]
	v_mul_f64 v[139:140], v[177:178], v[139:140]
	v_fma_f64 v[175:176], v[175:176], v[133:134], v[135:136]
	ds_read_b128 v[133:136], v205 offset:1408
	v_fma_f64 v[177:178], v[177:178], v[137:138], -v[181:182]
	v_fma_f64 v[179:180], v[179:180], v[137:138], v[139:140]
	ds_read_b128 v[137:140], v205 offset:2112
	s_waitcnt vmcnt(7) lgkmcnt(1)
	v_mul_f64 v[181:182], v[135:136], v[143:144]
	v_mul_f64 v[143:144], v[133:134], v[143:144]
	v_fma_f64 v[133:134], v[133:134], v[141:142], -v[181:182]
	s_waitcnt vmcnt(6) lgkmcnt(0)
	v_mul_f64 v[181:182], v[139:140], v[147:148]
	v_mul_f64 v[147:148], v[137:138], v[147:148]
	v_fma_f64 v[135:136], v[135:136], v[141:142], v[143:144]
	ds_read_b128 v[141:144], v205 offset:2816
	v_fma_f64 v[137:138], v[137:138], v[145:146], -v[181:182]
	v_fma_f64 v[139:140], v[139:140], v[145:146], v[147:148]
	ds_read_b128 v[145:148], v205 offset:3520
	;; [unrolled: 12-line block ×4, first 2 shown]
	s_waitcnt vmcnt(1) lgkmcnt(1)
	v_mul_f64 v[181:182], v[159:160], v[167:168]
	v_mul_f64 v[167:168], v[157:158], v[167:168]
	v_fma_f64 v[157:158], v[157:158], v[165:166], -v[181:182]
	v_fma_f64 v[159:160], v[159:160], v[165:166], v[167:168]
	global_load_dwordx4 v[165:168], v[82:83], off offset:1856
	s_waitcnt vmcnt(1) lgkmcnt(0)
	v_mul_f64 v[82:83], v[163:164], v[171:172]
	v_mul_f64 v[171:172], v[161:162], v[171:172]
	v_fma_f64 v[80:81], v[161:162], v[169:170], -v[82:83]
	v_fma_f64 v[82:83], v[163:164], v[169:170], v[171:172]
	global_load_dwordx4 v[161:164], v[185:186], off offset:512
	ds_read_b128 v[169:172], v205 offset:7040
	ds_read_b128 v[181:184], v205 offset:7744
	s_waitcnt vmcnt(1) lgkmcnt(1)
	v_mul_f64 v[187:188], v[171:172], v[167:168]
	v_mul_f64 v[189:190], v[169:170], v[167:168]
	v_fma_f64 v[167:168], v[169:170], v[165:166], -v[187:188]
	v_fma_f64 v[169:170], v[171:172], v[165:166], v[189:190]
	s_waitcnt vmcnt(0) lgkmcnt(0)
	v_mul_f64 v[165:166], v[183:184], v[163:164]
	v_mul_f64 v[171:172], v[181:182], v[163:164]
	v_fma_f64 v[163:164], v[181:182], v[161:162], -v[165:166]
	v_fma_f64 v[165:166], v[183:184], v[161:162], v[171:172]
	global_load_dwordx4 v[181:184], v[185:186], off offset:1216
	ds_read_b128 v[185:188], v205 offset:8448
	s_waitcnt vmcnt(0) lgkmcnt(0)
	v_mul_f64 v[161:162], v[187:188], v[183:184]
	v_mul_f64 v[171:172], v[185:186], v[183:184]
	v_fma_f64 v[183:184], v[185:186], v[181:182], -v[161:162]
	v_fma_f64 v[185:186], v[187:188], v[181:182], v[171:172]
	ds_write_b128 v205, v[173:176]
	ds_write_b128 v205, v[177:180] offset:704
	ds_write_b128 v205, v[133:136] offset:1408
	ds_write_b128 v205, v[137:140] offset:2112
	ds_write_b128 v205, v[141:144] offset:2816
	ds_write_b128 v205, v[145:148] offset:3520
	ds_write_b128 v205, v[149:152] offset:4224
	ds_write_b128 v205, v[153:156] offset:4928
	ds_write_b128 v205, v[157:160] offset:5632
	ds_write_b128 v205, v[80:83] offset:6336
	ds_write_b128 v205, v[167:170] offset:7040
	ds_write_b128 v205, v[163:166] offset:7744
	ds_write_b128 v205, v[183:186] offset:8448
.LBB0_13:
	s_or_b32 exec_lo, exec_lo, s2
	s_waitcnt lgkmcnt(0)
	s_barrier
	buffer_gl0_inv
	s_and_saveexec_b32 s1, vcc_lo
	s_cbranch_execz .LBB0_15
; %bb.14:
	ds_read_b128 v[84:87], v205
	ds_read_b128 v[128:131], v205 offset:704
	ds_read_b128 v[124:127], v205 offset:1408
	;; [unrolled: 1-line block ×12, first 2 shown]
.LBB0_15:
	s_or_b32 exec_lo, exec_lo, s1
	s_waitcnt lgkmcnt(0)
	v_add_f64 v[183:184], v[130:131], -v[2:3]
	v_add_f64 v[185:186], v[2:3], v[130:131]
	s_mov_b32 s2, 0x1ea71119
	s_mov_b32 s18, 0x42a4c3d2
	s_mov_b32 s3, 0x3fe22d96
	s_mov_b32 s19, 0xbfea55e2
	v_add_f64 v[181:182], v[0:1], v[128:129]
	v_add_f64 v[191:192], v[128:129], -v[0:1]
	v_add_f64 v[149:150], v[126:127], -v[90:91]
	v_add_f64 v[133:134], v[90:91], v[126:127]
	s_mov_b32 s8, 0xb2365da1
	s_mov_b32 s22, 0x2ef20147
	;; [unrolled: 1-line block ×4, first 2 shown]
	v_add_f64 v[135:136], v[88:89], v[124:125]
	v_add_f64 v[153:154], v[124:125], -v[88:89]
	v_add_f64 v[159:160], v[118:119], -v[94:95]
	v_add_f64 v[137:138], v[118:119], v[94:95]
	s_mov_b32 s10, 0x93053d00
	s_mov_b32 s28, 0x4bc48dbf
	;; [unrolled: 1-line block ×4, first 2 shown]
	v_mul_f64 v[201:202], v[183:184], s[18:19]
	v_mul_f64 v[203:204], v[185:186], s[2:3]
	v_add_f64 v[139:140], v[116:117], v[92:93]
	v_add_f64 v[163:164], v[116:117], -v[92:93]
	v_add_f64 v[141:142], v[122:123], v[98:99]
	v_add_f64 v[157:158], v[122:123], -v[98:99]
	s_mov_b32 s16, 0xd0032e0c
	s_mov_b32 s26, 0x24c2f84
	v_mul_f64 v[173:174], v[149:150], s[22:23]
	v_mul_f64 v[175:176], v[133:134], s[8:9]
	s_mov_b32 s17, 0xbfe7f3cc
	s_mov_b32 s27, 0x3fe5384d
	v_add_f64 v[143:144], v[120:121], v[96:97]
	v_add_f64 v[161:162], v[120:121], -v[96:97]
	v_add_f64 v[145:146], v[106:107], v[114:115]
	v_add_f64 v[165:166], v[114:115], -v[106:107]
	v_mul_f64 v[177:178], v[159:160], s[28:29]
	v_mul_f64 v[179:180], v[137:138], s[10:11]
	s_mov_b32 s20, 0xebaa3ed8
	s_mov_b32 s21, 0x3fbedb7d
	;; [unrolled: 1-line block ×4, first 2 shown]
	v_fma_f64 v[80:81], v[181:182], s[2:3], -v[201:202]
	v_fma_f64 v[82:83], v[191:192], s[18:19], v[203:204]
	v_add_f64 v[167:168], v[112:113], -v[104:105]
	v_add_f64 v[169:170], v[110:111], -v[102:103]
	v_mul_f64 v[189:190], v[141:142], s[16:17]
	v_mul_f64 v[187:188], v[157:158], s[26:27]
	s_mov_b32 s24, 0xe00740e9
	s_mov_b32 s35, 0x3fddbe06
	v_fma_f64 v[147:148], v[135:136], s[8:9], -v[173:174]
	v_fma_f64 v[151:152], v[153:154], s[22:23], v[175:176]
	s_mov_b32 s34, 0x4267c47c
	s_mov_b32 s25, 0x3fec55a7
	s_barrier
	v_mul_f64 v[195:196], v[145:146], s[20:21]
	v_mul_f64 v[193:194], v[165:166], s[30:31]
	v_fma_f64 v[155:156], v[139:140], s[10:11], -v[177:178]
	v_fma_f64 v[171:172], v[163:164], s[28:29], v[179:180]
	buffer_gl0_inv
	v_add_f64 v[80:81], v[84:85], v[80:81]
	v_add_f64 v[82:83], v[86:87], v[82:83]
	v_mul_f64 v[197:198], v[169:170], s[34:35]
	v_fma_f64 v[211:212], v[161:162], s[26:27], v[189:190]
	v_fma_f64 v[209:210], v[143:144], s[16:17], -v[187:188]
	v_fma_f64 v[215:216], v[167:168], s[30:31], v[195:196]
	v_add_f64 v[80:81], v[147:148], v[80:81]
	v_add_f64 v[82:83], v[151:152], v[82:83]
	v_add_f64 v[147:148], v[104:105], v[112:113]
	v_add_f64 v[151:152], v[102:103], v[110:111]
	v_add_f64 v[80:81], v[155:156], v[80:81]
	v_add_f64 v[82:83], v[171:172], v[82:83]
	v_add_f64 v[155:156], v[100:101], v[108:109]
	v_add_f64 v[171:172], v[108:109], -v[100:101]
	v_mul_f64 v[199:200], v[151:152], s[24:25]
	v_fma_f64 v[213:214], v[147:148], s[20:21], -v[193:194]
	v_add_f64 v[80:81], v[209:210], v[80:81]
	v_add_f64 v[82:83], v[211:212], v[82:83]
	v_fma_f64 v[209:210], v[155:156], s[24:25], -v[197:198]
	v_fma_f64 v[211:212], v[171:172], s[34:35], v[199:200]
	v_add_f64 v[80:81], v[213:214], v[80:81]
	v_add_f64 v[82:83], v[215:216], v[82:83]
	;; [unrolled: 1-line block ×4, first 2 shown]
	s_and_saveexec_b32 s1, vcc_lo
	s_cbranch_execz .LBB0_17
; %bb.16:
	v_add_f64 v[130:131], v[86:87], v[130:131]
	v_add_f64 v[128:129], v[84:85], v[128:129]
	s_mov_b32 s37, 0xbfe5384d
	s_mov_b32 s36, s26
	v_mul_f64 v[211:212], v[183:184], s[22:23]
	v_mul_f64 v[213:214], v[183:184], s[36:37]
	s_mov_b32 s39, 0x3fcea1e5
	s_mov_b32 s38, s28
	v_mul_f64 v[235:236], v[169:170], s[36:37]
	v_add_f64 v[126:127], v[126:127], v[130:131]
	v_add_f64 v[124:125], v[124:125], v[128:129]
	v_fma_f64 v[219:220], v[181:182], s[8:9], -v[211:212]
	v_fma_f64 v[211:212], v[181:182], s[8:9], v[211:212]
	v_fma_f64 v[221:222], v[181:182], s[16:17], -v[213:214]
	v_fma_f64 v[213:214], v[181:182], s[16:17], v[213:214]
	v_add_f64 v[118:119], v[118:119], v[126:127]
	v_add_f64 v[116:117], v[116:117], v[124:125]
	v_mul_f64 v[124:125], v[161:162], s[34:35]
	v_mul_f64 v[126:127], v[157:158], s[34:35]
	v_add_f64 v[211:212], v[84:85], v[211:212]
	v_add_f64 v[221:222], v[84:85], v[221:222]
	;; [unrolled: 1-line block ×5, first 2 shown]
	v_mul_f64 v[120:121], v[163:164], s[34:35]
	v_mul_f64 v[122:123], v[159:160], s[34:35]
	v_add_f64 v[114:115], v[114:115], v[118:119]
	v_add_f64 v[112:113], v[112:113], v[116:117]
	v_mul_f64 v[116:117], v[167:168], s[34:35]
	v_mul_f64 v[118:119], v[165:166], s[34:35]
	v_add_f64 v[110:111], v[110:111], v[114:115]
	v_add_f64 v[108:109], v[108:109], v[112:113]
	;; [unrolled: 4-line block ×3, first 2 shown]
	v_mul_f64 v[108:109], v[191:192], s[36:37]
	v_add_f64 v[102:103], v[106:107], v[102:103]
	v_add_f64 v[100:101], v[104:105], v[100:101]
	v_mul_f64 v[104:105], v[191:192], s[28:29]
	v_mul_f64 v[106:107], v[191:192], s[22:23]
	v_add_f64 v[98:99], v[98:99], v[102:103]
	v_add_f64 v[96:97], v[96:97], v[100:101]
	v_mul_f64 v[100:101], v[153:154], s[34:35]
	v_mul_f64 v[102:103], v[149:150], s[34:35]
	v_fma_f64 v[130:131], v[185:186], s[10:11], v[104:105]
	v_fma_f64 v[104:105], v[185:186], s[10:11], -v[104:105]
	v_add_f64 v[94:95], v[94:95], v[98:99]
	v_add_f64 v[92:93], v[92:93], v[96:97]
	v_mul_f64 v[96:97], v[169:170], s[30:31]
	v_mul_f64 v[98:99], v[171:172], s[34:35]
	s_mov_b32 s35, 0xbfddbe06
	v_add_f64 v[130:131], v[86:87], v[130:131]
	v_mul_f64 v[128:129], v[191:192], s[34:35]
	v_add_f64 v[104:105], v[86:87], v[104:105]
	v_add_f64 v[90:91], v[90:91], v[94:95]
	;; [unrolled: 1-line block ×3, first 2 shown]
	v_mul_f64 v[92:93], v[167:168], s[30:31]
	v_mul_f64 v[94:95], v[171:172], s[30:31]
	s_mov_b32 s31, 0xbfefc445
	v_add_f64 v[98:99], v[199:200], -v[98:99]
	v_mul_f64 v[110:111], v[191:192], s[30:31]
	v_fma_f64 v[209:210], v[185:186], s[24:25], -v[128:129]
	v_fma_f64 v[128:129], v[185:186], s[24:25], v[128:129]
	v_mul_f64 v[215:216], v[183:184], s[30:31]
	v_mul_f64 v[199:200], v[167:168], s[36:37]
	v_add_f64 v[2:3], v[2:3], v[90:91]
	v_add_f64 v[0:1], v[0:1], v[88:89]
	v_mul_f64 v[88:89], v[191:192], s[18:19]
	v_mul_f64 v[90:91], v[181:182], s[2:3]
	v_fma_f64 v[191:192], v[185:186], s[8:9], v[106:107]
	v_fma_f64 v[106:107], v[185:186], s[8:9], -v[106:107]
	v_add_f64 v[92:93], v[195:196], -v[92:93]
	v_mul_f64 v[195:196], v[161:162], s[22:23]
	v_add_f64 v[128:129], v[86:87], v[128:129]
	v_fma_f64 v[223:224], v[181:182], s[20:21], v[215:216]
	v_fma_f64 v[215:216], v[181:182], s[20:21], -v[215:216]
	v_add_f64 v[88:89], v[203:204], -v[88:89]
	v_add_f64 v[90:91], v[90:91], v[201:202]
	v_fma_f64 v[201:202], v[185:186], s[16:17], v[108:109]
	v_fma_f64 v[108:109], v[185:186], s[16:17], -v[108:109]
	v_fma_f64 v[203:204], v[185:186], s[20:21], v[110:111]
	v_fma_f64 v[110:111], v[185:186], s[20:21], -v[110:111]
	v_mul_f64 v[185:186], v[183:184], s[28:29]
	v_mul_f64 v[183:184], v[183:184], s[34:35]
	v_add_f64 v[223:224], v[84:85], v[223:224]
	v_add_f64 v[215:216], v[84:85], v[215:216]
	;; [unrolled: 1-line block ×3, first 2 shown]
	s_mov_b32 s35, 0x3fea55e2
	s_mov_b32 s34, s18
	v_add_f64 v[227:228], v[84:85], v[90:91]
	v_add_f64 v[201:202], v[86:87], v[201:202]
	;; [unrolled: 1-line block ×5, first 2 shown]
	v_fma_f64 v[217:218], v[181:182], s[10:11], -v[185:186]
	v_fma_f64 v[185:186], v[181:182], s[10:11], v[185:186]
	v_fma_f64 v[225:226], v[181:182], s[24:25], v[183:184]
	v_fma_f64 v[181:182], v[181:182], s[24:25], -v[183:184]
	v_add_f64 v[110:111], v[86:87], v[209:210]
	v_add_f64 v[183:184], v[84:85], v[217:218]
	;; [unrolled: 1-line block ×8, first 2 shown]
	v_fma_f64 v[84:85], v[133:134], s[24:25], v[100:101]
	v_mul_f64 v[88:89], v[163:164], s[36:37]
	v_fma_f64 v[86:87], v[135:136], s[24:25], -v[102:103]
	v_fma_f64 v[100:101], v[133:134], s[24:25], -v[100:101]
	v_fma_f64 v[102:103], v[135:136], s[24:25], v[102:103]
	v_add_f64 v[84:85], v[84:85], v[130:131]
	v_fma_f64 v[90:91], v[137:138], s[16:17], v[88:89]
	v_add_f64 v[86:87], v[86:87], v[183:184]
	v_add_f64 v[100:101], v[100:101], v[104:105]
	v_fma_f64 v[88:89], v[137:138], s[16:17], -v[88:89]
	v_add_f64 v[102:103], v[102:103], v[185:186]
	v_mul_f64 v[104:105], v[161:162], s[26:27]
	v_mul_f64 v[185:186], v[153:154], s[18:19]
	v_add_f64 v[84:85], v[90:91], v[84:85]
	v_mul_f64 v[90:91], v[159:160], s[36:37]
	v_add_f64 v[88:89], v[88:89], v[100:101]
	v_add_f64 v[104:105], v[189:190], -v[104:105]
	v_mul_f64 v[189:190], v[163:164], s[30:31]
	v_fma_f64 v[130:131], v[139:140], s[16:17], -v[90:91]
	v_fma_f64 v[90:91], v[139:140], s[16:17], v[90:91]
	v_add_f64 v[86:87], v[130:131], v[86:87]
	v_mul_f64 v[130:131], v[161:162], s[34:35]
	v_add_f64 v[90:91], v[90:91], v[102:103]
	v_mul_f64 v[102:103], v[139:140], s[10:11]
	v_fma_f64 v[183:184], v[141:142], s[2:3], v[130:131]
	v_fma_f64 v[100:101], v[141:142], s[2:3], -v[130:131]
	v_add_f64 v[102:103], v[102:103], v[177:178]
	v_mul_f64 v[130:131], v[163:164], s[18:19]
	v_mul_f64 v[177:178], v[157:158], s[38:39]
	v_add_f64 v[84:85], v[183:184], v[84:85]
	v_mul_f64 v[183:184], v[157:158], s[34:35]
	v_add_f64 v[88:89], v[100:101], v[88:89]
	v_fma_f64 v[225:226], v[143:144], s[2:3], -v[183:184]
	v_fma_f64 v[100:101], v[143:144], s[2:3], v[183:184]
	v_mul_f64 v[183:184], v[169:170], s[22:23]
	v_add_f64 v[86:87], v[225:226], v[86:87]
	v_mul_f64 v[225:226], v[167:168], s[22:23]
	v_add_f64 v[90:91], v[100:101], v[90:91]
	v_fma_f64 v[231:232], v[145:146], s[8:9], v[225:226]
	v_fma_f64 v[100:101], v[145:146], s[8:9], -v[225:226]
	v_mul_f64 v[225:226], v[153:154], s[28:29]
	v_add_f64 v[84:85], v[231:232], v[84:85]
	v_mul_f64 v[231:232], v[165:166], s[22:23]
	v_add_f64 v[88:89], v[100:101], v[88:89]
	v_fma_f64 v[233:234], v[147:148], s[8:9], -v[231:232]
	v_fma_f64 v[100:101], v[147:148], s[8:9], v[231:232]
	v_mul_f64 v[231:232], v[165:166], s[18:19]
	v_add_f64 v[233:234], v[233:234], v[86:87]
	v_fma_f64 v[86:87], v[151:152], s[20:21], v[94:95]
	v_add_f64 v[100:101], v[100:101], v[90:91]
	v_fma_f64 v[90:91], v[151:152], s[20:21], -v[94:95]
	v_fma_f64 v[94:95], v[155:156], s[20:21], v[96:97]
	v_add_f64 v[86:87], v[86:87], v[84:85]
	v_fma_f64 v[84:85], v[155:156], s[20:21], -v[96:97]
	v_add_f64 v[90:91], v[90:91], v[88:89]
	v_add_f64 v[88:89], v[94:95], v[100:101]
	v_mul_f64 v[94:95], v[153:154], s[22:23]
	v_mul_f64 v[96:97], v[135:136], s[8:9]
	;; [unrolled: 1-line block ×4, first 2 shown]
	v_add_f64 v[84:85], v[84:85], v[233:234]
	v_mul_f64 v[233:234], v[171:172], s[36:37]
	v_add_f64 v[94:95], v[175:176], -v[94:95]
	v_add_f64 v[96:97], v[96:97], v[173:174]
	v_add_f64 v[100:101], v[179:180], -v[100:101]
	v_mul_f64 v[173:174], v[159:160], s[18:19]
	v_mul_f64 v[175:176], v[161:162], s[38:39]
	;; [unrolled: 1-line block ×4, first 2 shown]
	v_add_f64 v[94:95], v[94:95], v[106:107]
	v_add_f64 v[96:97], v[96:97], v[227:228]
	v_mul_f64 v[106:107], v[143:144], s[16:17]
	v_mul_f64 v[227:228], v[149:150], s[28:29]
	v_add_f64 v[94:95], v[100:101], v[94:95]
	v_add_f64 v[96:97], v[102:103], v[96:97]
	;; [unrolled: 1-line block ×3, first 2 shown]
	v_mul_f64 v[100:101], v[147:148], s[20:21]
	v_mul_f64 v[102:103], v[155:156], s[24:25]
	;; [unrolled: 1-line block ×4, first 2 shown]
	v_add_f64 v[94:95], v[104:105], v[94:95]
	v_fma_f64 v[104:105], v[137:138], s[20:21], -v[189:190]
	v_add_f64 v[96:97], v[106:107], v[96:97]
	v_add_f64 v[100:101], v[100:101], v[193:194]
	;; [unrolled: 1-line block ×3, first 2 shown]
	v_mul_f64 v[193:194], v[159:160], s[30:31]
	v_mul_f64 v[197:198], v[157:158], s[22:23]
	s_mov_b32 s23, 0x3fedeba7
	v_fma_f64 v[106:107], v[135:136], s[10:11], v[227:228]
	v_mul_f64 v[163:164], v[163:164], s[22:23]
	v_mul_f64 v[159:160], v[159:160], s[22:23]
	;; [unrolled: 1-line block ×3, first 2 shown]
	v_add_f64 v[92:93], v[92:93], v[94:95]
	v_add_f64 v[96:97], v[100:101], v[96:97]
	v_fma_f64 v[100:101], v[137:138], s[2:3], v[130:131]
	v_fma_f64 v[130:131], v[137:138], s[2:3], -v[130:131]
	v_add_f64 v[106:107], v[106:107], v[223:224]
	v_mul_f64 v[223:224], v[167:168], s[18:19]
	v_mul_f64 v[167:168], v[167:168], s[38:39]
	v_add_f64 v[94:95], v[98:99], v[92:93]
	v_fma_f64 v[98:99], v[135:136], s[20:21], -v[114:115]
	v_fma_f64 v[114:115], v[135:136], s[20:21], v[114:115]
	v_add_f64 v[92:93], v[102:103], v[96:97]
	v_fma_f64 v[96:97], v[133:134], s[20:21], v[112:113]
	v_fma_f64 v[102:103], v[135:136], s[2:3], v[187:188]
	v_fma_f64 v[112:113], v[133:134], s[20:21], -v[112:113]
	v_add_f64 v[98:99], v[98:99], v[221:222]
	v_mul_f64 v[221:222], v[169:170], s[28:29]
	v_add_f64 v[114:115], v[114:115], v[213:214]
	v_add_f64 v[96:97], v[96:97], v[201:202]
	;; [unrolled: 1-line block ×3, first 2 shown]
	v_mul_f64 v[201:202], v[165:166], s[36:37]
	v_mul_f64 v[209:210], v[171:172], s[28:29]
	v_add_f64 v[112:113], v[112:113], v[229:230]
	v_mul_f64 v[165:166], v[165:166], s[38:39]
	v_mul_f64 v[171:172], v[171:172], s[34:35]
	;; [unrolled: 1-line block ×3, first 2 shown]
	v_add_f64 v[96:97], v[100:101], v[96:97]
	v_fma_f64 v[100:101], v[139:140], s[2:3], -v[173:174]
	v_add_f64 v[112:113], v[130:131], v[112:113]
	v_fma_f64 v[130:131], v[139:140], s[2:3], v[173:174]
	v_add_f64 v[98:99], v[100:101], v[98:99]
	v_fma_f64 v[100:101], v[141:142], s[10:11], v[175:176]
	v_add_f64 v[114:115], v[130:131], v[114:115]
	v_fma_f64 v[130:131], v[141:142], s[10:11], -v[175:176]
	v_add_f64 v[96:97], v[100:101], v[96:97]
	v_fma_f64 v[100:101], v[143:144], s[10:11], -v[177:178]
	v_add_f64 v[112:113], v[130:131], v[112:113]
	v_fma_f64 v[130:131], v[143:144], s[10:11], v[177:178]
	v_add_f64 v[98:99], v[100:101], v[98:99]
	v_fma_f64 v[100:101], v[145:146], s[24:25], v[116:117]
	v_fma_f64 v[116:117], v[145:146], s[24:25], -v[116:117]
	v_add_f64 v[114:115], v[130:131], v[114:115]
	v_fma_f64 v[130:131], v[139:140], s[8:9], -v[159:160]
	v_add_f64 v[96:97], v[100:101], v[96:97]
	;; [unrolled: 2-line block ×3, first 2 shown]
	v_fma_f64 v[116:117], v[147:148], s[24:25], v[118:119]
	v_fma_f64 v[118:119], v[155:156], s[8:9], v[183:184]
	v_add_f64 v[100:101], v[100:101], v[98:99]
	v_fma_f64 v[98:99], v[151:152], s[8:9], v[179:180]
	v_add_f64 v[116:117], v[116:117], v[114:115]
	v_fma_f64 v[114:115], v[151:152], s[8:9], -v[179:180]
	v_add_f64 v[98:99], v[98:99], v[96:97]
	v_fma_f64 v[96:97], v[155:156], s[8:9], -v[183:184]
	v_add_f64 v[114:115], v[114:115], v[112:113]
	v_add_f64 v[112:113], v[118:119], v[116:117]
	v_fma_f64 v[116:117], v[133:134], s[16:17], v[153:154]
	v_fma_f64 v[118:119], v[135:136], s[16:17], -v[149:150]
	v_add_f64 v[96:97], v[96:97], v[100:101]
	v_fma_f64 v[100:101], v[133:134], s[2:3], -v[185:186]
	v_add_f64 v[116:117], v[116:117], v[191:192]
	v_add_f64 v[118:119], v[118:119], v[217:218]
	;; [unrolled: 1-line block ×3, first 2 shown]
	v_fma_f64 v[110:111], v[135:136], s[16:17], v[149:150]
	v_add_f64 v[100:101], v[104:105], v[100:101]
	v_fma_f64 v[104:105], v[139:140], s[20:21], v[193:194]
	v_add_f64 v[110:111], v[110:111], v[211:212]
	v_fma_f64 v[211:212], v[137:138], s[24:25], -v[120:121]
	v_fma_f64 v[120:121], v[137:138], s[24:25], v[120:121]
	v_add_f64 v[102:103], v[104:105], v[102:103]
	v_fma_f64 v[104:105], v[141:142], s[8:9], -v[195:196]
	v_add_f64 v[116:117], v[120:121], v[116:117]
	v_fma_f64 v[120:121], v[139:140], s[24:25], -v[122:123]
	v_add_f64 v[100:101], v[104:105], v[100:101]
	v_fma_f64 v[104:105], v[143:144], s[8:9], v[197:198]
	v_add_f64 v[118:119], v[120:121], v[118:119]
	v_fma_f64 v[120:121], v[141:142], s[20:21], v[161:162]
	v_add_f64 v[102:103], v[104:105], v[102:103]
	v_fma_f64 v[104:105], v[145:146], s[16:17], -v[199:200]
	v_add_f64 v[116:117], v[120:121], v[116:117]
	v_fma_f64 v[120:121], v[143:144], s[20:21], -v[157:158]
	v_add_f64 v[100:101], v[104:105], v[100:101]
	v_fma_f64 v[104:105], v[147:148], s[16:17], v[201:202]
	v_add_f64 v[118:119], v[120:121], v[118:119]
	;; [unrolled: 8-line block ×3, first 2 shown]
	v_fma_f64 v[118:119], v[151:152], s[2:3], v[171:172]
	v_add_f64 v[100:101], v[100:101], v[104:105]
	v_fma_f64 v[104:105], v[133:134], s[10:11], -v[225:226]
	v_add_f64 v[118:119], v[118:119], v[116:117]
	v_add_f64 v[104:105], v[104:105], v[108:109]
	v_fma_f64 v[108:109], v[137:138], s[8:9], -v[163:164]
	v_add_f64 v[104:105], v[108:109], v[104:105]
	v_fma_f64 v[108:109], v[139:140], s[8:9], v[159:160]
	v_add_f64 v[106:107], v[108:109], v[106:107]
	v_fma_f64 v[108:109], v[141:142], s[24:25], -v[124:125]
	v_fma_f64 v[124:125], v[141:142], s[24:25], v[124:125]
	v_add_f64 v[104:105], v[108:109], v[104:105]
	v_fma_f64 v[108:109], v[143:144], s[24:25], v[126:127]
	v_add_f64 v[106:107], v[108:109], v[106:107]
	v_fma_f64 v[108:109], v[145:146], s[2:3], -v[223:224]
	v_add_f64 v[104:105], v[108:109], v[104:105]
	v_fma_f64 v[108:109], v[147:148], s[2:3], v[231:232]
	v_add_f64 v[108:109], v[108:109], v[106:107]
	v_fma_f64 v[106:107], v[151:152], s[16:17], -v[233:234]
	;; [unrolled: 4-line block ×3, first 2 shown]
	v_add_f64 v[108:109], v[108:109], v[219:220]
	v_add_f64 v[108:109], v[211:212], v[108:109]
	v_fma_f64 v[211:212], v[139:140], s[24:25], v[122:123]
	v_fma_f64 v[122:123], v[155:156], s[2:3], -v[169:170]
	v_add_f64 v[110:111], v[211:212], v[110:111]
	v_add_f64 v[116:117], v[122:123], v[120:121]
	v_fma_f64 v[120:121], v[133:134], s[10:11], v[225:226]
	v_fma_f64 v[122:123], v[137:138], s[8:9], v[163:164]
	v_fma_f64 v[211:212], v[141:142], s[20:21], -v[161:162]
	v_add_f64 v[120:121], v[120:121], v[203:204]
	v_add_f64 v[108:109], v[211:212], v[108:109]
	v_fma_f64 v[211:212], v[143:144], s[20:21], v[157:158]
	v_add_f64 v[120:121], v[122:123], v[120:121]
	v_fma_f64 v[122:123], v[135:136], s[10:11], -v[227:228]
	v_add_f64 v[110:111], v[211:212], v[110:111]
	v_fma_f64 v[211:212], v[145:146], s[10:11], -v[167:168]
	v_add_f64 v[120:121], v[124:125], v[120:121]
	v_add_f64 v[122:123], v[122:123], v[215:216]
	v_fma_f64 v[124:125], v[143:144], s[24:25], -v[126:127]
	v_fma_f64 v[126:127], v[155:156], s[16:17], -v[235:236]
	v_add_f64 v[108:109], v[211:212], v[108:109]
	v_fma_f64 v[211:212], v[147:148], s[10:11], v[165:166]
	v_add_f64 v[122:123], v[130:131], v[122:123]
	v_fma_f64 v[130:131], v[137:138], s[20:21], v[189:190]
	v_add_f64 v[211:212], v[211:212], v[110:111]
	v_fma_f64 v[110:111], v[151:152], s[2:3], -v[171:172]
	v_add_f64 v[122:123], v[124:125], v[122:123]
	v_fma_f64 v[124:125], v[145:146], s[2:3], v[223:224]
	v_add_f64 v[110:111], v[110:111], v[108:109]
	v_fma_f64 v[108:109], v[155:156], s[2:3], v[169:170]
	v_add_f64 v[120:121], v[124:125], v[120:121]
	v_fma_f64 v[124:125], v[147:148], s[2:3], -v[231:232]
	v_add_f64 v[108:109], v[108:109], v[211:212]
	v_add_f64 v[124:125], v[124:125], v[122:123]
	v_fma_f64 v[122:123], v[151:152], s[16:17], v[233:234]
	v_add_f64 v[122:123], v[122:123], v[120:121]
	v_add_f64 v[120:121], v[126:127], v[124:125]
	v_fma_f64 v[124:125], v[133:134], s[2:3], v[185:186]
	v_fma_f64 v[126:127], v[135:136], s[2:3], -v[187:188]
	v_fma_f64 v[133:134], v[141:142], s[8:9], v[195:196]
	v_add_f64 v[124:125], v[124:125], v[128:129]
	v_fma_f64 v[128:129], v[139:140], s[20:21], -v[193:194]
	v_add_f64 v[126:127], v[126:127], v[181:182]
	v_add_f64 v[124:125], v[130:131], v[124:125]
	v_fma_f64 v[130:131], v[143:144], s[8:9], -v[197:198]
	v_add_f64 v[126:127], v[128:129], v[126:127]
	v_fma_f64 v[128:129], v[145:146], s[16:17], v[199:200]
	v_add_f64 v[124:125], v[133:134], v[124:125]
	v_fma_f64 v[133:134], v[147:148], s[16:17], -v[201:202]
	v_add_f64 v[126:127], v[130:131], v[126:127]
	v_fma_f64 v[130:131], v[151:152], s[10:11], v[209:210]
	v_add_f64 v[124:125], v[128:129], v[124:125]
	v_fma_f64 v[128:129], v[155:156], s[10:11], -v[221:222]
	v_add_f64 v[133:134], v[133:134], v[126:127]
	v_add_f64 v[126:127], v[130:131], v[124:125]
	;; [unrolled: 1-line block ×3, first 2 shown]
	v_mov_b32_e32 v128, 4
	v_lshlrev_b32_sdwa v128, v128, v207 dst_sel:DWORD dst_unused:UNUSED_PAD src0_sel:DWORD src1_sel:WORD_0
	ds_write_b128 v128, v[0:3]
	ds_write_b128 v128, v[100:103] offset:16
	ds_write_b128 v128, v[92:95] offset:32
	;; [unrolled: 1-line block ×12, first 2 shown]
.LBB0_17:
	s_or_b32 exec_lo, exec_lo, s1
	s_waitcnt lgkmcnt(0)
	s_barrier
	buffer_gl0_inv
	ds_read_b128 v[84:87], v205 offset:832
	ds_read_b128 v[0:3], v205
	ds_read_b128 v[88:91], v205 offset:1664
	ds_read_b128 v[92:95], v205 offset:2496
	;; [unrolled: 1-line block ×9, first 2 shown]
	s_mov_b32 s10, 0x8764f0ba
	s_mov_b32 s11, 0x3feaeb8c
	;; [unrolled: 1-line block ×9, first 2 shown]
	s_waitcnt lgkmcnt(10)
	v_mul_f64 v[124:125], v[26:27], v[86:87]
	v_mul_f64 v[26:27], v[26:27], v[84:85]
	s_waitcnt lgkmcnt(8)
	v_mul_f64 v[128:129], v[22:23], v[90:91]
	v_mul_f64 v[22:23], v[22:23], v[88:89]
	;; [unrolled: 3-line block ×3, first 2 shown]
	s_mov_b32 s20, 0xd9c712b6
	s_waitcnt lgkmcnt(3)
	v_mul_f64 v[137:138], v[30:31], v[110:111]
	s_waitcnt lgkmcnt(2)
	v_mul_f64 v[130:131], v[34:35], v[114:115]
	v_mul_f64 v[34:35], v[34:35], v[112:113]
	s_waitcnt lgkmcnt(0)
	v_mul_f64 v[126:127], v[42:43], v[120:121]
	v_mul_f64 v[30:31], v[30:31], v[108:109]
	s_mov_b32 s26, 0xbb3a28a1
	s_mov_b32 s17, 0xbfed1bb4
	;; [unrolled: 1-line block ×10, first 2 shown]
	v_fma_f64 v[84:85], v[24:25], v[84:85], v[124:125]
	v_fma_f64 v[24:25], v[24:25], v[86:87], -v[26:27]
	v_mul_f64 v[26:27], v[42:43], v[122:123]
	v_mul_f64 v[42:43], v[38:39], v[118:119]
	;; [unrolled: 1-line block ×4, first 2 shown]
	v_fma_f64 v[88:89], v[20:21], v[88:89], v[128:129]
	v_fma_f64 v[20:21], v[20:21], v[90:91], -v[22:23]
	v_mul_f64 v[124:125], v[10:11], v[92:93]
	s_mov_b32 s39, 0xbfeeb42a
	v_fma_f64 v[6:7], v[40:41], v[122:123], -v[126:127]
	v_mul_f64 v[122:123], v[18:19], v[102:103]
	v_mul_f64 v[18:19], v[18:19], v[100:101]
	;; [unrolled: 1-line block ×4, first 2 shown]
	s_mov_b32 s2, s8
	s_mov_b32 s29, 0x3fefac9e
	;; [unrolled: 1-line block ×7, first 2 shown]
	v_add_f64 v[22:23], v[0:1], v[84:85]
	v_add_f64 v[90:91], v[2:3], v[24:25]
	v_fma_f64 v[10:11], v[40:41], v[120:121], v[26:27]
	v_fma_f64 v[26:27], v[36:37], v[116:117], v[42:43]
	v_fma_f64 v[36:37], v[36:37], v[118:119], -v[38:39]
	v_fma_f64 v[38:39], v[8:9], v[92:93], v[86:87]
	v_fma_f64 v[40:41], v[32:33], v[112:113], v[130:131]
	v_fma_f64 v[32:33], v[32:33], v[114:115], -v[34:35]
	v_fma_f64 v[8:9], v[8:9], v[94:95], -v[124:125]
	v_fma_f64 v[34:35], v[4:5], v[96:97], v[133:134]
	v_fma_f64 v[4:5], v[4:5], v[98:99], -v[135:136]
	v_fma_f64 v[42:43], v[28:29], v[108:109], v[137:138]
	;; [unrolled: 2-line block ×4, first 2 shown]
	v_fma_f64 v[12:13], v[12:13], v[106:107], -v[14:15]
	v_add_f64 v[30:31], v[24:25], -v[6:7]
	v_add_f64 v[24:25], v[24:25], v[6:7]
	s_mov_b32 s37, 0x3fe82f19
	s_mov_b32 s36, s26
	v_add_f64 v[22:23], v[22:23], v[88:89]
	v_add_f64 v[90:91], v[90:91], v[20:21]
	;; [unrolled: 1-line block ×3, first 2 shown]
	v_add_f64 v[84:85], v[84:85], -v[10:11]
	v_add_f64 v[94:95], v[20:21], -v[36:37]
	v_add_f64 v[20:21], v[20:21], v[36:37]
	v_add_f64 v[96:97], v[38:39], v[40:41]
	v_add_f64 v[100:101], v[38:39], -v[40:41]
	v_add_f64 v[98:99], v[8:9], v[32:33]
	v_add_f64 v[102:103], v[8:9], -v[32:33]
	;; [unrolled: 2-line block ×4, first 2 shown]
	v_add_f64 v[104:105], v[34:35], v[42:43]
	s_barrier
	buffer_gl0_inv
	v_mul_f64 v[110:111], v[30:31], s[8:9]
	v_mul_f64 v[112:113], v[24:25], s[10:11]
	;; [unrolled: 1-line block ×5, first 2 shown]
	v_add_f64 v[22:23], v[22:23], v[38:39]
	v_add_f64 v[8:9], v[90:91], v[8:9]
	v_mul_f64 v[38:39], v[30:31], s[22:23]
	v_mul_f64 v[90:91], v[24:25], s[24:25]
	;; [unrolled: 1-line block ×15, first 2 shown]
	v_fma_f64 v[153:154], v[14:15], s[10:11], v[110:111]
	v_fma_f64 v[155:156], v[84:85], s[2:3], v[112:113]
	v_fma_f64 v[110:111], v[14:15], s[10:11], -v[110:111]
	v_fma_f64 v[112:113], v[84:85], s[8:9], v[112:113]
	v_fma_f64 v[157:158], v[14:15], s[20:21], v[114:115]
	v_add_f64 v[22:23], v[22:23], v[34:35]
	v_add_f64 v[4:5], v[8:9], v[4:5]
	v_fma_f64 v[161:162], v[14:15], s[24:25], v[38:39]
	v_fma_f64 v[163:164], v[84:85], s[28:29], v[90:91]
	v_fma_f64 v[38:39], v[14:15], s[24:25], -v[38:39]
	v_fma_f64 v[90:91], v[84:85], s[22:23], v[90:91]
	v_fma_f64 v[159:160], v[84:85], s[18:19], v[116:117]
	v_fma_f64 v[116:117], v[84:85], s[16:17], v[116:117]
	v_fma_f64 v[165:166], v[14:15], s[30:31], v[118:119]
	v_mul_f64 v[141:142], v[98:99], s[24:25]
	v_fma_f64 v[167:168], v[84:85], s[36:37], v[120:121]
	v_fma_f64 v[120:121], v[84:85], s[26:27], v[120:121]
	;; [unrolled: 1-line block ×6, first 2 shown]
	v_mul_f64 v[139:140], v[102:103], s[22:23]
	v_mul_f64 v[8:9], v[102:103], s[18:19]
	v_add_f64 v[155:156], v[2:3], v[155:156]
	v_mul_f64 v[147:148], v[98:99], s[20:21]
	v_fma_f64 v[114:115], v[14:15], s[20:21], -v[114:115]
	v_fma_f64 v[118:119], v[14:15], s[30:31], -v[118:119]
	v_add_f64 v[22:23], v[22:23], v[86:87]
	v_add_f64 v[4:5], v[4:5], v[16:17]
	v_fma_f64 v[14:15], v[14:15], s[38:39], -v[30:31]
	v_fma_f64 v[30:31], v[92:93], s[20:21], v[122:123]
	v_fma_f64 v[177:178], v[92:93], s[38:39], v[130:131]
	;; [unrolled: 1-line block ×3, first 2 shown]
	v_fma_f64 v[130:131], v[92:93], s[38:39], -v[130:131]
	v_fma_f64 v[133:134], v[88:89], s[40:41], v[133:134]
	v_add_f64 v[153:154], v[0:1], v[153:154]
	v_add_f64 v[38:39], v[0:1], v[38:39]
	;; [unrolled: 1-line block ×3, first 2 shown]
	v_mul_f64 v[149:150], v[102:103], s[8:9]
	v_fma_f64 v[122:123], v[92:93], s[20:21], -v[122:123]
	v_fma_f64 v[124:125], v[88:89], s[16:17], v[124:125]
	v_fma_f64 v[175:176], v[88:89], s[36:37], v[128:129]
	;; [unrolled: 1-line block ×4, first 2 shown]
	v_add_f64 v[116:117], v[2:3], v[116:117]
	v_fma_f64 v[173:174], v[92:93], s[30:31], v[126:127]
	v_fma_f64 v[126:127], v[92:93], s[30:31], -v[126:127]
	v_fma_f64 v[135:136], v[92:93], s[24:25], -v[135:136]
	v_fma_f64 v[185:186], v[92:93], s[10:11], v[94:95]
	v_add_f64 v[22:23], v[22:23], v[18:19]
	v_add_f64 v[4:5], v[4:5], v[12:13]
	v_fma_f64 v[187:188], v[88:89], s[8:9], v[20:21]
	v_fma_f64 v[92:93], v[92:93], s[10:11], -v[94:95]
	v_fma_f64 v[20:21], v[88:89], s[2:3], v[20:21]
	v_fma_f64 v[94:95], v[100:101], s[28:29], v[141:142]
	v_add_f64 v[120:121], v[2:3], v[120:121]
	v_mul_f64 v[143:144], v[102:103], s[40:41]
	v_mul_f64 v[145:146], v[98:99], s[38:39]
	;; [unrolled: 1-line block ×5, first 2 shown]
	v_fma_f64 v[183:184], v[88:89], s[22:23], v[137:138]
	v_fma_f64 v[137:138], v[88:89], s[28:29], v[137:138]
	;; [unrolled: 1-line block ×5, first 2 shown]
	v_fma_f64 v[8:9], v[96:97], s[20:21], -v[8:9]
	v_fma_f64 v[147:148], v[100:101], s[18:19], v[147:148]
	v_add_f64 v[114:115], v[0:1], v[114:115]
	v_add_f64 v[118:119], v[0:1], v[118:119]
	;; [unrolled: 1-line block ×20, first 2 shown]
	v_fma_f64 v[139:140], v[96:97], s[24:25], -v[139:140]
	v_fma_f64 v[141:142], v[100:101], s[22:23], v[141:142]
	v_fma_f64 v[189:190], v[96:97], s[38:39], v[143:144]
	;; [unrolled: 1-line block ×3, first 2 shown]
	v_fma_f64 v[143:144], v[96:97], s[38:39], -v[143:144]
	v_add_f64 v[22:23], v[22:23], v[40:41]
	v_add_f64 v[4:5], v[4:5], v[32:33]
	;; [unrolled: 1-line block ×5, first 2 shown]
	v_fma_f64 v[145:146], v[100:101], s[40:41], v[145:146]
	v_add_f64 v[32:33], v[173:174], v[112:113]
	v_add_f64 v[40:41], v[175:176], v[157:158]
	;; [unrolled: 1-line block ×8, first 2 shown]
	v_add_f64 v[24:25], v[34:35], -v[42:43]
	v_mul_f64 v[34:35], v[106:107], s[30:31]
	v_add_f64 v[120:121], v[137:138], v[120:121]
	v_add_f64 v[0:1], v[92:93], v[0:1]
	;; [unrolled: 1-line block ×3, first 2 shown]
	v_fma_f64 v[42:43], v[100:101], s[2:3], v[151:152]
	v_mul_f64 v[88:89], v[108:109], s[28:29]
	v_mul_f64 v[92:93], v[106:107], s[24:25]
	v_add_f64 v[22:23], v[22:23], v[26:27]
	v_mul_f64 v[26:27], v[108:109], s[26:27]
	v_add_f64 v[4:5], v[4:5], v[36:37]
	v_fma_f64 v[36:37], v[96:97], s[10:11], v[149:150]
	v_fma_f64 v[94:95], v[96:97], s[10:11], -v[149:150]
	v_fma_f64 v[128:129], v[100:101], s[8:9], v[151:152]
	v_fma_f64 v[130:131], v[96:97], s[30:31], v[102:103]
	;; [unrolled: 1-line block ×3, first 2 shown]
	v_add_f64 v[8:9], v[8:9], v[38:39]
	v_add_f64 v[38:39], v[147:148], v[90:91]
	v_fma_f64 v[90:91], v[96:97], s[30:31], -v[102:103]
	v_fma_f64 v[96:97], v[100:101], s[26:27], v[98:99]
	v_add_f64 v[112:113], v[177:178], v[159:160]
	v_mul_f64 v[102:103], v[108:109], s[8:9]
	v_add_f64 v[114:115], v[179:180], v[161:162]
	v_add_f64 v[28:29], v[139:140], v[28:29]
	v_add_f64 v[30:31], v[141:142], v[30:31]
	v_fma_f64 v[100:101], v[24:25], s[36:37], v[34:35]
	v_fma_f64 v[34:35], v[24:25], s[26:27], v[34:35]
	v_add_f64 v[32:33], v[189:190], v[32:33]
	v_add_f64 v[40:41], v[191:192], v[40:41]
	;; [unrolled: 1-line block ×4, first 2 shown]
	v_fma_f64 v[98:99], v[104:105], s[30:31], v[26:27]
	v_fma_f64 v[26:27], v[104:105], s[30:31], -v[26:27]
	v_add_f64 v[36:37], v[36:37], v[116:117]
	v_mul_f64 v[116:117], v[106:107], s[10:11]
	v_add_f64 v[42:43], v[42:43], v[122:123]
	v_fma_f64 v[122:123], v[104:105], s[24:25], v[88:89]
	v_fma_f64 v[135:136], v[24:25], s[22:23], v[92:93]
	v_add_f64 v[94:95], v[94:95], v[118:119]
	v_fma_f64 v[88:89], v[104:105], s[24:25], -v[88:89]
	v_fma_f64 v[92:93], v[24:25], s[28:29], v[92:93]
	v_add_f64 v[118:119], v[128:129], v[120:121]
	v_mul_f64 v[120:121], v[108:109], s[34:35]
	v_mul_f64 v[128:129], v[106:107], s[38:39]
	;; [unrolled: 1-line block ×4, first 2 shown]
	v_add_f64 v[0:1], v[90:91], v[0:1]
	v_add_f64 v[112:113], v[193:194], v[112:113]
	;; [unrolled: 1-line block ×8, first 2 shown]
	v_add_f64 v[14:15], v[16:17], -v[12:13]
	v_add_f64 v[12:13], v[16:17], v[12:13]
	v_fma_f64 v[16:17], v[104:105], s[10:11], v[102:103]
	v_add_f64 v[26:27], v[26:27], v[28:29]
	v_fma_f64 v[28:29], v[24:25], s[2:3], v[116:117]
	v_fma_f64 v[34:35], v[104:105], s[10:11], -v[102:103]
	v_add_f64 v[20:21], v[100:101], v[20:21]
	v_add_f64 v[30:31], v[122:123], v[32:33]
	;; [unrolled: 1-line block ×5, first 2 shown]
	v_fma_f64 v[88:89], v[24:25], s[8:9], v[116:117]
	v_fma_f64 v[92:93], v[104:105], s[38:39], v[120:121]
	;; [unrolled: 1-line block ×3, first 2 shown]
	v_fma_f64 v[100:101], v[104:105], s[38:39], -v[120:121]
	v_fma_f64 v[102:103], v[24:25], s[34:35], v[128:129]
	v_fma_f64 v[110:111], v[104:105], s[20:21], v[108:109]
	;; [unrolled: 1-line block ×3, first 2 shown]
	v_fma_f64 v[104:105], v[104:105], s[20:21], -v[108:109]
	v_fma_f64 v[24:25], v[24:25], s[18:19], v[106:107]
	v_add_f64 v[106:107], v[86:87], v[18:19]
	v_add_f64 v[18:19], v[86:87], -v[18:19]
	v_mul_f64 v[86:87], v[14:15], s[34:35]
	v_mul_f64 v[108:109], v[12:13], s[38:39]
	v_add_f64 v[112:113], v[16:17], v[112:113]
	v_mul_f64 v[16:17], v[14:15], s[2:3]
	v_mul_f64 v[120:121], v[12:13], s[10:11]
	v_add_f64 v[126:127], v[133:134], v[126:127]
	v_add_f64 v[28:29], v[28:29], v[114:115]
	v_mul_f64 v[114:115], v[14:15], s[26:27]
	v_mul_f64 v[122:123], v[12:13], s[30:31]
	v_add_f64 v[124:125], v[130:131], v[124:125]
	v_add_f64 v[34:35], v[34:35], v[8:9]
	v_mul_f64 v[8:9], v[14:15], s[18:19]
	v_mul_f64 v[128:129], v[12:13], s[20:21]
	;; [unrolled: 1-line block ×4, first 2 shown]
	v_add_f64 v[88:89], v[88:89], v[38:39]
	v_add_f64 v[38:39], v[98:99], v[42:43]
	;; [unrolled: 1-line block ×7, first 2 shown]
	v_fma_f64 v[0:1], v[106:107], s[38:39], v[86:87]
	v_fma_f64 v[24:25], v[18:19], s[40:41], v[108:109]
	v_fma_f64 v[86:87], v[106:107], s[38:39], -v[86:87]
	v_fma_f64 v[102:103], v[106:107], s[10:11], v[16:17]
	v_fma_f64 v[104:105], v[18:19], s[8:9], v[120:121]
	v_add_f64 v[98:99], v[116:117], v[126:127]
	v_fma_f64 v[120:121], v[18:19], s[2:3], v[120:121]
	v_fma_f64 v[116:117], v[106:107], s[30:31], v[114:115]
	;; [unrolled: 1-line block ×3, first 2 shown]
	v_add_f64 v[94:95], v[110:111], v[124:125]
	v_fma_f64 v[110:111], v[106:107], s[10:11], -v[16:17]
	v_fma_f64 v[124:125], v[106:107], s[20:21], v[8:9]
	v_fma_f64 v[126:127], v[18:19], s[16:17], v[128:129]
	;; [unrolled: 1-line block ×4, first 2 shown]
	v_fma_f64 v[114:115], v[106:107], s[30:31], -v[114:115]
	v_fma_f64 v[130:131], v[106:107], s[20:21], -v[8:9]
	;; [unrolled: 1-line block ×3, first 2 shown]
	v_fma_f64 v[137:138], v[18:19], s[22:23], v[12:13]
	v_fma_f64 v[128:129], v[18:19], s[18:19], v[128:129]
	;; [unrolled: 1-line block ×4, first 2 shown]
	v_add_f64 v[12:13], v[22:23], v[10:11]
	v_add_f64 v[14:15], v[4:5], v[6:7]
	;; [unrolled: 1-line block ×22, first 2 shown]
	ds_write_b128 v208, v[12:15]
	ds_write_b128 v208, v[16:19] offset:208
	ds_write_b128 v208, v[20:23] offset:416
	;; [unrolled: 1-line block ×10, first 2 shown]
	s_waitcnt lgkmcnt(0)
	s_barrier
	buffer_gl0_inv
	ds_read_b128 v[12:15], v205
	ds_read_b128 v[16:19], v205 offset:832
	ds_read_b128 v[32:35], v205 offset:2288
	ds_read_b128 v[20:23], v205 offset:3120
	ds_read_b128 v[36:39], v205 offset:4576
	ds_read_b128 v[24:27], v205 offset:5408
	ds_read_b128 v[40:43], v205 offset:6864
	ds_read_b128 v[28:31], v205 offset:7696
	s_and_saveexec_b32 s1, s0
	s_cbranch_execz .LBB0_19
; %bb.18:
	ds_read_b128 v[0:3], v205 offset:1664
	ds_read_b128 v[4:7], v205 offset:3952
	;; [unrolled: 1-line block ×4, first 2 shown]
.LBB0_19:
	s_or_b32 exec_lo, exec_lo, s1
	s_waitcnt lgkmcnt(5)
	v_mul_f64 v[84:85], v[74:75], v[34:35]
	v_mul_f64 v[74:75], v[74:75], v[32:33]
	s_waitcnt lgkmcnt(3)
	v_mul_f64 v[86:87], v[62:63], v[38:39]
	v_mul_f64 v[62:63], v[62:63], v[36:37]
	;; [unrolled: 3-line block ×3, first 2 shown]
	v_mul_f64 v[90:91], v[66:67], v[22:23]
	v_mul_f64 v[66:67], v[66:67], v[20:21]
	;; [unrolled: 1-line block ×4, first 2 shown]
	s_waitcnt lgkmcnt(0)
	v_mul_f64 v[94:95], v[78:79], v[30:31]
	v_mul_f64 v[78:79], v[78:79], v[28:29]
	v_fma_f64 v[32:33], v[72:73], v[32:33], v[84:85]
	v_fma_f64 v[34:35], v[72:73], v[34:35], -v[74:75]
	v_fma_f64 v[36:37], v[60:61], v[36:37], v[86:87]
	v_fma_f64 v[38:39], v[60:61], v[38:39], -v[62:63]
	;; [unrolled: 2-line block ×6, first 2 shown]
	v_add_f64 v[36:37], v[12:13], -v[36:37]
	v_add_f64 v[38:39], v[14:15], -v[38:39]
	;; [unrolled: 1-line block ×8, first 2 shown]
	v_fma_f64 v[60:61], v[12:13], 2.0, -v[36:37]
	v_fma_f64 v[62:63], v[14:15], 2.0, -v[38:39]
	;; [unrolled: 1-line block ×4, first 2 shown]
	v_add_f64 v[12:13], v[36:37], v[42:43]
	v_add_f64 v[14:15], v[38:39], -v[40:41]
	v_fma_f64 v[64:65], v[16:17], 2.0, -v[56:57]
	v_fma_f64 v[66:67], v[18:19], 2.0, -v[58:59]
	;; [unrolled: 1-line block ×4, first 2 shown]
	v_add_f64 v[16:17], v[56:57], v[26:27]
	v_add_f64 v[18:19], v[58:59], -v[24:25]
	v_add_f64 v[20:21], v[60:61], -v[28:29]
	;; [unrolled: 1-line block ×3, first 2 shown]
	v_fma_f64 v[28:29], v[36:37], 2.0, -v[12:13]
	v_fma_f64 v[30:31], v[38:39], 2.0, -v[14:15]
	v_add_f64 v[24:25], v[64:65], -v[32:33]
	v_add_f64 v[26:27], v[66:67], -v[34:35]
	v_fma_f64 v[32:33], v[56:57], 2.0, -v[16:17]
	v_fma_f64 v[34:35], v[58:59], 2.0, -v[18:19]
	v_fma_f64 v[36:37], v[60:61], 2.0, -v[20:21]
	v_fma_f64 v[38:39], v[62:63], 2.0, -v[22:23]
	v_fma_f64 v[40:41], v[64:65], 2.0, -v[24:25]
	v_fma_f64 v[42:43], v[66:67], 2.0, -v[26:27]
	ds_write_b128 v205, v[12:15] offset:6864
	ds_write_b128 v205, v[28:31] offset:2288
	;; [unrolled: 1-line block ×5, first 2 shown]
	ds_write_b128 v205, v[36:39]
	ds_write_b128 v205, v[40:43] offset:832
	ds_write_b128 v205, v[16:19] offset:7696
	s_and_saveexec_b32 s1, s0
	s_cbranch_execz .LBB0_21
; %bb.20:
	v_mul_f64 v[12:13], v[54:55], v[8:9]
	v_mul_f64 v[14:15], v[46:47], v[6:7]
	;; [unrolled: 1-line block ×6, first 2 shown]
	v_fma_f64 v[10:11], v[52:53], v[10:11], -v[12:13]
	v_fma_f64 v[4:5], v[44:45], v[4:5], v[14:15]
	v_fma_f64 v[6:7], v[44:45], v[6:7], -v[16:17]
	v_fma_f64 v[12:13], v[48:49], v[82:83], -v[18:19]
	v_fma_f64 v[8:9], v[52:53], v[8:9], v[20:21]
	v_fma_f64 v[14:15], v[48:49], v[80:81], v[22:23]
	v_add_f64 v[10:11], v[2:3], -v[10:11]
	v_add_f64 v[12:13], v[6:7], -v[12:13]
	;; [unrolled: 1-line block ×4, first 2 shown]
	v_fma_f64 v[16:17], v[2:3], 2.0, -v[10:11]
	v_fma_f64 v[6:7], v[6:7], 2.0, -v[12:13]
	;; [unrolled: 1-line block ×4, first 2 shown]
	v_add_f64 v[2:3], v[10:11], -v[14:15]
	v_add_f64 v[0:1], v[8:9], v[12:13]
	v_add_f64 v[6:7], v[16:17], -v[6:7]
	v_add_f64 v[4:5], v[18:19], -v[4:5]
	v_fma_f64 v[10:11], v[10:11], 2.0, -v[2:3]
	v_fma_f64 v[8:9], v[8:9], 2.0, -v[0:1]
	;; [unrolled: 1-line block ×4, first 2 shown]
	ds_write_b128 v205, v[8:11] offset:3952
	ds_write_b128 v205, v[4:7] offset:6240
	;; [unrolled: 1-line block ×4, first 2 shown]
.LBB0_21:
	s_or_b32 exec_lo, exec_lo, s1
	s_waitcnt lgkmcnt(0)
	s_barrier
	buffer_gl0_inv
	s_and_b32 exec_lo, exec_lo, vcc_lo
	s_cbranch_execz .LBB0_23
; %bb.22:
	v_add_co_u32 v0, s0, s14, v205
	v_add_co_ci_u32_e64 v1, null, s15, 0, s0
	s_clause 0x2
	global_load_dwordx4 v[2:5], v205, s[14:15]
	global_load_dwordx4 v[6:9], v205, s[14:15] offset:704
	global_load_dwordx4 v[10:13], v205, s[14:15] offset:1408
	v_add_co_u32 v22, vcc_lo, 0x800, v0
	v_add_co_ci_u32_e32 v23, vcc_lo, 0, v1, vcc_lo
	v_add_co_u32 v34, vcc_lo, 0x1000, v0
	v_add_co_ci_u32_e32 v35, vcc_lo, 0, v1, vcc_lo
	s_clause 0x3
	global_load_dwordx4 v[14:17], v[22:23], off offset:64
	global_load_dwordx4 v[18:21], v[22:23], off offset:768
	global_load_dwordx4 v[22:25], v[22:23], off offset:1472
	global_load_dwordx4 v[26:29], v[34:35], off offset:128
	v_add_co_u32 v46, vcc_lo, 0x1800, v0
	v_add_co_ci_u32_e32 v47, vcc_lo, 0, v1, vcc_lo
	s_clause 0x4
	global_load_dwordx4 v[30:33], v[34:35], off offset:832
	global_load_dwordx4 v[34:37], v[34:35], off offset:1536
	;; [unrolled: 1-line block ×5, first 2 shown]
	v_mad_u64_u32 v[50:51], null, s6, v132, 0
	v_mad_u64_u32 v[52:53], null, s4, v206, 0
	s_mul_i32 s0, s5, 0x2c0
	s_mul_hi_u32 s1, s4, 0x2c0
	s_mul_i32 s2, s4, 0x2c0
	s_add_i32 s3, s1, s0
	s_mov_b32 s0, 0x55ee191
	s_mov_b32 s1, 0x3f5ca4b3
	v_mad_u64_u32 v[54:55], null, s7, v132, v[51:52]
	v_mad_u64_u32 v[55:56], null, s5, v206, v[53:54]
	v_mov_b32_e32 v51, v54
	v_lshlrev_b64 v[50:51], 4, v[50:51]
	v_mov_b32_e32 v53, v55
	v_lshlrev_b64 v[52:53], 4, v[52:53]
	v_add_co_u32 v50, vcc_lo, s12, v50
	v_add_co_ci_u32_e32 v51, vcc_lo, s13, v51, vcc_lo
	v_add_co_u32 v102, vcc_lo, v50, v52
	v_add_co_ci_u32_e32 v103, vcc_lo, v51, v53, vcc_lo
	ds_read_b128 v[50:53], v205
	ds_read_b128 v[54:57], v205 offset:704
	ds_read_b128 v[58:61], v205 offset:1408
	;; [unrolled: 1-line block ×11, first 2 shown]
	v_add_co_u32 v104, vcc_lo, v102, s2
	v_add_co_ci_u32_e32 v105, vcc_lo, s3, v103, vcc_lo
	ds_read_b128 v[98:101], v205 offset:8448
	v_add_co_u32 v106, vcc_lo, v104, s2
	v_add_co_ci_u32_e32 v107, vcc_lo, s3, v105, vcc_lo
	v_add_co_u32 v108, vcc_lo, v106, s2
	v_add_co_ci_u32_e32 v109, vcc_lo, s3, v107, vcc_lo
	;; [unrolled: 2-line block ×8, first 2 shown]
	s_waitcnt vmcnt(11) lgkmcnt(12)
	v_mul_f64 v[122:123], v[52:53], v[4:5]
	v_mul_f64 v[4:5], v[50:51], v[4:5]
	s_waitcnt vmcnt(10) lgkmcnt(11)
	v_mul_f64 v[124:125], v[56:57], v[8:9]
	v_mul_f64 v[8:9], v[54:55], v[8:9]
	;; [unrolled: 3-line block ×12, first 2 shown]
	v_fma_f64 v[50:51], v[50:51], v[2:3], v[122:123]
	v_fma_f64 v[4:5], v[2:3], v[52:53], -v[4:5]
	v_fma_f64 v[52:53], v[54:55], v[6:7], v[124:125]
	v_fma_f64 v[8:9], v[6:7], v[56:57], -v[8:9]
	;; [unrolled: 2-line block ×12, first 2 shown]
	v_mul_f64 v[2:3], v[50:51], s[0:1]
	v_mul_f64 v[4:5], v[4:5], s[0:1]
	;; [unrolled: 1-line block ×24, first 2 shown]
	v_add_co_u32 v50, vcc_lo, v120, s2
	v_add_co_ci_u32_e32 v51, vcc_lo, s3, v121, vcc_lo
	v_add_co_u32 v0, vcc_lo, 0x2000, v0
	v_add_co_ci_u32_e32 v1, vcc_lo, 0, v1, vcc_lo
	v_add_co_u32 v52, vcc_lo, v50, s2
	v_add_co_ci_u32_e32 v53, vcc_lo, s3, v51, vcc_lo
	global_store_dwordx4 v[102:103], v[2:5], off
	global_store_dwordx4 v[104:105], v[6:9], off
	;; [unrolled: 1-line block ×12, first 2 shown]
	global_load_dwordx4 v[0:3], v[0:1], off offset:256
	s_waitcnt vmcnt(0) lgkmcnt(0)
	v_mul_f64 v[4:5], v[100:101], v[2:3]
	v_mul_f64 v[2:3], v[98:99], v[2:3]
	v_fma_f64 v[4:5], v[98:99], v[0:1], v[4:5]
	v_fma_f64 v[2:3], v[0:1], v[100:101], -v[2:3]
	v_mul_f64 v[0:1], v[4:5], s[0:1]
	v_mul_f64 v[2:3], v[2:3], s[0:1]
	v_add_co_u32 v4, vcc_lo, v52, s2
	v_add_co_ci_u32_e32 v5, vcc_lo, s3, v53, vcc_lo
	global_store_dwordx4 v[4:5], v[0:3], off
.LBB0_23:
	s_endpgm
	.section	.rodata,"a",@progbits
	.p2align	6, 0x0
	.amdhsa_kernel bluestein_single_fwd_len572_dim1_dp_op_CI_CI
		.amdhsa_group_segment_fixed_size 9152
		.amdhsa_private_segment_fixed_size 0
		.amdhsa_kernarg_size 104
		.amdhsa_user_sgpr_count 6
		.amdhsa_user_sgpr_private_segment_buffer 1
		.amdhsa_user_sgpr_dispatch_ptr 0
		.amdhsa_user_sgpr_queue_ptr 0
		.amdhsa_user_sgpr_kernarg_segment_ptr 1
		.amdhsa_user_sgpr_dispatch_id 0
		.amdhsa_user_sgpr_flat_scratch_init 0
		.amdhsa_user_sgpr_private_segment_size 0
		.amdhsa_wavefront_size32 1
		.amdhsa_uses_dynamic_stack 0
		.amdhsa_system_sgpr_private_segment_wavefront_offset 0
		.amdhsa_system_sgpr_workgroup_id_x 1
		.amdhsa_system_sgpr_workgroup_id_y 0
		.amdhsa_system_sgpr_workgroup_id_z 0
		.amdhsa_system_sgpr_workgroup_info 0
		.amdhsa_system_vgpr_workitem_id 0
		.amdhsa_next_free_vgpr 238
		.amdhsa_next_free_sgpr 46
		.amdhsa_reserve_vcc 1
		.amdhsa_reserve_flat_scratch 0
		.amdhsa_float_round_mode_32 0
		.amdhsa_float_round_mode_16_64 0
		.amdhsa_float_denorm_mode_32 3
		.amdhsa_float_denorm_mode_16_64 3
		.amdhsa_dx10_clamp 1
		.amdhsa_ieee_mode 1
		.amdhsa_fp16_overflow 0
		.amdhsa_workgroup_processor_mode 1
		.amdhsa_memory_ordered 1
		.amdhsa_forward_progress 0
		.amdhsa_shared_vgpr_count 0
		.amdhsa_exception_fp_ieee_invalid_op 0
		.amdhsa_exception_fp_denorm_src 0
		.amdhsa_exception_fp_ieee_div_zero 0
		.amdhsa_exception_fp_ieee_overflow 0
		.amdhsa_exception_fp_ieee_underflow 0
		.amdhsa_exception_fp_ieee_inexact 0
		.amdhsa_exception_int_div_zero 0
	.end_amdhsa_kernel
	.text
.Lfunc_end0:
	.size	bluestein_single_fwd_len572_dim1_dp_op_CI_CI, .Lfunc_end0-bluestein_single_fwd_len572_dim1_dp_op_CI_CI
                                        ; -- End function
	.section	.AMDGPU.csdata,"",@progbits
; Kernel info:
; codeLenInByte = 20072
; NumSgprs: 48
; NumVgprs: 238
; ScratchSize: 0
; MemoryBound: 0
; FloatMode: 240
; IeeeMode: 1
; LDSByteSize: 9152 bytes/workgroup (compile time only)
; SGPRBlocks: 5
; VGPRBlocks: 29
; NumSGPRsForWavesPerEU: 48
; NumVGPRsForWavesPerEU: 238
; Occupancy: 4
; WaveLimiterHint : 1
; COMPUTE_PGM_RSRC2:SCRATCH_EN: 0
; COMPUTE_PGM_RSRC2:USER_SGPR: 6
; COMPUTE_PGM_RSRC2:TRAP_HANDLER: 0
; COMPUTE_PGM_RSRC2:TGID_X_EN: 1
; COMPUTE_PGM_RSRC2:TGID_Y_EN: 0
; COMPUTE_PGM_RSRC2:TGID_Z_EN: 0
; COMPUTE_PGM_RSRC2:TIDIG_COMP_CNT: 0
	.text
	.p2alignl 6, 3214868480
	.fill 48, 4, 3214868480
	.type	__hip_cuid_7f7f14d2937c3484,@object ; @__hip_cuid_7f7f14d2937c3484
	.section	.bss,"aw",@nobits
	.globl	__hip_cuid_7f7f14d2937c3484
__hip_cuid_7f7f14d2937c3484:
	.byte	0                               ; 0x0
	.size	__hip_cuid_7f7f14d2937c3484, 1

	.ident	"AMD clang version 19.0.0git (https://github.com/RadeonOpenCompute/llvm-project roc-6.4.0 25133 c7fe45cf4b819c5991fe208aaa96edf142730f1d)"
	.section	".note.GNU-stack","",@progbits
	.addrsig
	.addrsig_sym __hip_cuid_7f7f14d2937c3484
	.amdgpu_metadata
---
amdhsa.kernels:
  - .args:
      - .actual_access:  read_only
        .address_space:  global
        .offset:         0
        .size:           8
        .value_kind:     global_buffer
      - .actual_access:  read_only
        .address_space:  global
        .offset:         8
        .size:           8
        .value_kind:     global_buffer
      - .actual_access:  read_only
        .address_space:  global
        .offset:         16
        .size:           8
        .value_kind:     global_buffer
      - .actual_access:  read_only
        .address_space:  global
        .offset:         24
        .size:           8
        .value_kind:     global_buffer
      - .actual_access:  read_only
        .address_space:  global
        .offset:         32
        .size:           8
        .value_kind:     global_buffer
      - .offset:         40
        .size:           8
        .value_kind:     by_value
      - .address_space:  global
        .offset:         48
        .size:           8
        .value_kind:     global_buffer
      - .address_space:  global
        .offset:         56
        .size:           8
        .value_kind:     global_buffer
      - .address_space:  global
        .offset:         64
        .size:           8
        .value_kind:     global_buffer
      - .address_space:  global
        .offset:         72
        .size:           8
        .value_kind:     global_buffer
      - .offset:         80
        .size:           4
        .value_kind:     by_value
      - .address_space:  global
        .offset:         88
        .size:           8
        .value_kind:     global_buffer
      - .address_space:  global
        .offset:         96
        .size:           8
        .value_kind:     global_buffer
    .group_segment_fixed_size: 9152
    .kernarg_segment_align: 8
    .kernarg_segment_size: 104
    .language:       OpenCL C
    .language_version:
      - 2
      - 0
    .max_flat_workgroup_size: 52
    .name:           bluestein_single_fwd_len572_dim1_dp_op_CI_CI
    .private_segment_fixed_size: 0
    .sgpr_count:     48
    .sgpr_spill_count: 0
    .symbol:         bluestein_single_fwd_len572_dim1_dp_op_CI_CI.kd
    .uniform_work_group_size: 1
    .uses_dynamic_stack: false
    .vgpr_count:     238
    .vgpr_spill_count: 0
    .wavefront_size: 32
    .workgroup_processor_mode: 1
amdhsa.target:   amdgcn-amd-amdhsa--gfx1030
amdhsa.version:
  - 1
  - 2
...

	.end_amdgpu_metadata
